;; amdgpu-corpus repo=ROCm/rocFFT kind=compiled arch=gfx1201 opt=O3
	.text
	.amdgcn_target "amdgcn-amd-amdhsa--gfx1201"
	.amdhsa_code_object_version 6
	.protected	bluestein_single_back_len1287_dim1_dp_op_CI_CI ; -- Begin function bluestein_single_back_len1287_dim1_dp_op_CI_CI
	.globl	bluestein_single_back_len1287_dim1_dp_op_CI_CI
	.p2align	8
	.type	bluestein_single_back_len1287_dim1_dp_op_CI_CI,@function
bluestein_single_back_len1287_dim1_dp_op_CI_CI: ; @bluestein_single_back_len1287_dim1_dp_op_CI_CI
; %bb.0:
	s_load_b128 s[8:11], s[0:1], 0x28
	v_mul_u32_u24_e32 v1, 0x231, v0
	s_mov_b32 s2, exec_lo
	v_mov_b32_e32 v5, 0
	s_delay_alu instid0(VALU_DEP_2) | instskip(NEXT) | instid1(VALU_DEP_1)
	v_lshrrev_b32_e32 v1, 16, v1
	v_add_nc_u32_e32 v4, ttmp9, v1
	s_wait_kmcnt 0x0
	s_delay_alu instid0(VALU_DEP_1)
	v_cmpx_gt_u64_e64 s[8:9], v[4:5]
	s_cbranch_execz .LBB0_31
; %bb.1:
	s_clause 0x1
	s_load_b128 s[4:7], s[0:1], 0x18
	s_load_b64 s[16:17], s[0:1], 0x0
	v_mul_lo_u16 v1, 0x75, v1
	s_movk_i32 s2, 0xfd1b
	s_mov_b32 s3, -1
	v_mov_b32_e32 v5, v4
	s_delay_alu instid0(VALU_DEP_2) | instskip(SKIP_2) | instid1(VALU_DEP_1)
	v_sub_nc_u16 v74, v0, v1
	scratch_store_b64 off, v[5:6], off offset:8 ; 8-byte Folded Spill
	v_and_b32_e32 v172, 0xffff, v74
	v_lshlrev_b32_e32 v255, 4, v172
	s_wait_kmcnt 0x0
	s_load_b128 s[12:15], s[4:5], 0x0
	s_clause 0x6
	global_load_b128 v[75:78], v255, s[16:17]
	global_load_b128 v[79:82], v255, s[16:17] offset:1872
	global_load_b128 v[83:86], v255, s[16:17] offset:8736
	;; [unrolled: 1-line block ×6, first 2 shown]
	s_wait_kmcnt 0x0
	v_mad_co_u64_u32 v[0:1], null, s14, v4, 0
	v_mad_co_u64_u32 v[2:3], null, s12, v172, 0
	s_mul_u64 s[4:5], s[12:13], 0x1ad
	s_mul_u64 s[2:3], s[12:13], s[2:3]
	s_delay_alu instid0(SALU_CYCLE_1) | instskip(NEXT) | instid1(VALU_DEP_1)
	s_lshl_b64 s[2:3], s[2:3], 4
	v_mad_co_u64_u32 v[4:5], null, s15, v4, v[1:2]
	s_delay_alu instid0(VALU_DEP_1) | instskip(SKIP_1) | instid1(VALU_DEP_1)
	v_mad_co_u64_u32 v[5:6], null, s13, v172, v[3:4]
	v_mov_b32_e32 v1, v4
	v_lshlrev_b64_e32 v[0:1], 4, v[0:1]
	s_delay_alu instid0(VALU_DEP_3) | instskip(NEXT) | instid1(VALU_DEP_2)
	v_mov_b32_e32 v3, v5
	v_add_co_u32 v0, vcc_lo, s10, v0
	s_delay_alu instid0(VALU_DEP_2) | instskip(NEXT) | instid1(VALU_DEP_4)
	v_lshlrev_b64_e32 v[2:3], 4, v[2:3]
	v_add_co_ci_u32_e32 v1, vcc_lo, s11, v1, vcc_lo
	s_lshl_b64 s[10:11], s[4:5], 4
	s_delay_alu instid0(VALU_DEP_2) | instskip(SKIP_1) | instid1(VALU_DEP_2)
	v_add_co_u32 v0, vcc_lo, v0, v2
	s_wait_alu 0xfffd
	v_add_co_ci_u32_e32 v1, vcc_lo, v1, v3, vcc_lo
	s_wait_alu 0xfffe
	s_delay_alu instid0(VALU_DEP_2) | instskip(SKIP_1) | instid1(VALU_DEP_2)
	v_add_co_u32 v6, vcc_lo, v0, s10
	s_wait_alu 0xfffd
	v_add_co_ci_u32_e32 v7, vcc_lo, s11, v1, vcc_lo
	s_delay_alu instid0(VALU_DEP_2) | instskip(SKIP_1) | instid1(VALU_DEP_2)
	v_add_co_u32 v10, vcc_lo, v6, s10
	s_wait_alu 0xfffd
	v_add_co_ci_u32_e32 v11, vcc_lo, s11, v7, vcc_lo
	s_clause 0x1
	global_load_b128 v[2:5], v[0:1], off
	global_load_b128 v[6:9], v[6:7], off
	v_add_co_u32 v14, vcc_lo, v10, s2
	s_wait_alu 0xfffd
	v_add_co_ci_u32_e32 v15, vcc_lo, s3, v11, vcc_lo
	s_delay_alu instid0(VALU_DEP_2) | instskip(SKIP_1) | instid1(VALU_DEP_2)
	v_add_co_u32 v18, vcc_lo, v14, s10
	s_wait_alu 0xfffd
	v_add_co_ci_u32_e32 v19, vcc_lo, s11, v15, vcc_lo
	s_clause 0x1
	global_load_b128 v[10:13], v[10:11], off
	global_load_b128 v[14:17], v[14:15], off
	v_add_co_u32 v0, vcc_lo, v18, s10
	s_wait_alu 0xfffd
	v_add_co_ci_u32_e32 v1, vcc_lo, s11, v19, vcc_lo
	global_load_b128 v[18:21], v[18:19], off
	v_add_co_u32 v26, vcc_lo, v0, s2
	s_wait_alu 0xfffd
	v_add_co_ci_u32_e32 v27, vcc_lo, s3, v1, vcc_lo
	;; [unrolled: 4-line block ×3, first 2 shown]
	s_delay_alu instid0(VALU_DEP_2) | instskip(SKIP_1) | instid1(VALU_DEP_2)
	v_add_co_u32 v0, vcc_lo, v30, s10
	s_wait_alu 0xfffd
	v_add_co_ci_u32_e32 v1, vcc_lo, s11, v31, vcc_lo
	global_load_b128 v[26:29], v[26:27], off
	global_load_b128 v[103:106], v255, s[16:17] offset:10608
	global_load_b128 v[30:33], v[30:31], off
	global_load_b128 v[107:110], v255, s[16:17] offset:17472
	global_load_b128 v[34:37], v[0:1], off
	v_cmp_gt_u16_e32 vcc_lo, 0x4e, v74
	s_wait_loadcnt 0x11
	scratch_store_b128 off, v[75:78], off offset:20 ; 16-byte Folded Spill
	s_wait_loadcnt 0x10
	scratch_store_b128 off, v[79:82], off offset:36 ; 16-byte Folded Spill
	s_wait_loadcnt 0xc
	s_clause 0x3
	scratch_store_b128 off, v[95:98], off offset:100
	scratch_store_b128 off, v[91:94], off offset:84
	;; [unrolled: 1-line block ×4, first 2 shown]
	s_wait_loadcnt 0xb
	scratch_store_b128 off, v[99:102], off offset:116 ; 16-byte Folded Spill
	s_wait_loadcnt 0xa
	v_mul_f64_e32 v[38:39], v[4:5], v[77:78]
	v_mul_f64_e32 v[40:41], v[2:3], v[77:78]
	s_wait_loadcnt 0x9
	v_mul_f64_e32 v[42:43], v[8:9], v[97:98]
	v_mul_f64_e32 v[44:45], v[6:7], v[97:98]
	s_wait_loadcnt 0x8
	v_mul_f64_e32 v[46:47], v[12:13], v[89:90]
	s_wait_loadcnt 0x7
	v_mul_f64_e32 v[50:51], v[16:17], v[81:82]
	v_mul_f64_e32 v[52:53], v[14:15], v[81:82]
	;; [unrolled: 1-line block ×3, first 2 shown]
	s_wait_loadcnt 0x6
	v_mul_f64_e32 v[54:55], v[20:21], v[85:86]
	v_mul_f64_e32 v[56:57], v[18:19], v[85:86]
	s_wait_loadcnt 0x5
	v_mul_f64_e32 v[58:59], v[24:25], v[93:94]
	v_mul_f64_e32 v[60:61], v[22:23], v[93:94]
	s_wait_loadcnt 0x4
	v_mul_f64_e32 v[62:63], v[28:29], v[101:102]
	s_wait_loadcnt 0x3
	scratch_store_b128 off, v[103:106], off offset:132 ; 16-byte Folded Spill
	v_mul_f64_e32 v[64:65], v[26:27], v[101:102]
	s_wait_loadcnt 0x2
	v_mul_f64_e32 v[66:67], v[32:33], v[105:106]
	v_mul_f64_e32 v[68:69], v[30:31], v[105:106]
	s_wait_loadcnt 0x0
	v_mul_f64_e32 v[70:71], v[36:37], v[109:110]
	v_mul_f64_e32 v[72:73], v[34:35], v[109:110]
	scratch_store_b128 off, v[107:110], off offset:148 ; 16-byte Folded Spill
	s_load_b64 s[8:9], s[0:1], 0x38
	s_load_b128 s[4:7], s[6:7], 0x0
	v_fma_f64 v[2:3], v[2:3], v[75:76], v[38:39]
	v_fma_f64 v[4:5], v[4:5], v[75:76], -v[40:41]
	v_fma_f64 v[6:7], v[6:7], v[95:96], v[42:43]
	v_fma_f64 v[8:9], v[8:9], v[95:96], -v[44:45]
	v_add_co_u32 v38, s12, s16, v255
	s_wait_alu 0xf1ff
	v_add_co_ci_u32_e64 v39, null, s17, 0, s12
	v_fma_f64 v[10:11], v[10:11], v[87:88], v[46:47]
	v_fma_f64 v[14:15], v[14:15], v[79:80], v[50:51]
	v_fma_f64 v[16:17], v[16:17], v[79:80], -v[52:53]
	v_fma_f64 v[12:13], v[12:13], v[87:88], -v[48:49]
	scratch_store_b64 off, v[38:39], off    ; 8-byte Folded Spill
	v_fma_f64 v[18:19], v[18:19], v[83:84], v[54:55]
	v_fma_f64 v[20:21], v[20:21], v[83:84], -v[56:57]
	v_fma_f64 v[22:23], v[22:23], v[91:92], v[58:59]
	v_fma_f64 v[24:25], v[24:25], v[91:92], -v[60:61]
	ds_store_b128 v255, v[2:5]
	ds_store_b128 v255, v[14:17] offset:1872
	ds_store_b128 v255, v[10:13] offset:13728
	;; [unrolled: 1-line block ×3, first 2 shown]
	v_fma_f64 v[26:27], v[26:27], v[99:100], v[62:63]
	v_fma_f64 v[28:29], v[28:29], v[99:100], -v[64:65]
	v_fma_f64 v[30:31], v[30:31], v[103:104], v[66:67]
	v_fma_f64 v[32:33], v[32:33], v[103:104], -v[68:69]
	;; [unrolled: 2-line block ×3, first 2 shown]
	ds_store_b128 v255, v[6:9] offset:6864
	ds_store_b128 v255, v[26:29] offset:3744
	;; [unrolled: 1-line block ×5, first 2 shown]
	s_and_saveexec_b32 s12, vcc_lo
	s_cbranch_execz .LBB0_3
; %bb.2:
	scratch_load_b64 v[16:17], off, off     ; 8-byte Folded Reload
	v_add_co_u32 v0, s2, v0, s2
	s_wait_alu 0xf1ff
	v_add_co_ci_u32_e64 v1, s2, s3, v1, s2
	s_delay_alu instid0(VALU_DEP_2) | instskip(SKIP_1) | instid1(VALU_DEP_2)
	v_add_co_u32 v8, s2, v0, s10
	s_wait_alu 0xf1ff
	v_add_co_ci_u32_e64 v9, s2, s11, v1, s2
	global_load_b128 v[0:3], v[0:1], off
	v_add_co_u32 v20, s2, v8, s10
	s_wait_alu 0xf1ff
	v_add_co_ci_u32_e64 v21, s2, s11, v9, s2
	s_wait_loadcnt 0x1
	global_load_b128 v[4:7], v[16:17], off offset:5616
	global_load_b128 v[8:11], v[8:9], off
	s_clause 0x1
	global_load_b128 v[12:15], v[16:17], off offset:12480
	global_load_b128 v[16:19], v[16:17], off offset:19344
	global_load_b128 v[20:23], v[20:21], off
	s_wait_loadcnt 0x4
	v_mul_f64_e32 v[24:25], v[2:3], v[6:7]
	v_mul_f64_e32 v[6:7], v[0:1], v[6:7]
	s_wait_loadcnt 0x2
	v_mul_f64_e32 v[26:27], v[10:11], v[14:15]
	v_mul_f64_e32 v[14:15], v[8:9], v[14:15]
	;; [unrolled: 3-line block ×3, first 2 shown]
	v_fma_f64 v[0:1], v[0:1], v[4:5], v[24:25]
	v_fma_f64 v[2:3], v[2:3], v[4:5], -v[6:7]
	v_fma_f64 v[4:5], v[8:9], v[12:13], v[26:27]
	v_fma_f64 v[6:7], v[10:11], v[12:13], -v[14:15]
	;; [unrolled: 2-line block ×3, first 2 shown]
	ds_store_b128 v255, v[0:3] offset:5616
	ds_store_b128 v255, v[4:7] offset:12480
	;; [unrolled: 1-line block ×3, first 2 shown]
.LBB0_3:
	s_wait_alu 0xfffe
	s_or_b32 exec_lo, exec_lo, s12
	global_wb scope:SCOPE_SE
	s_wait_storecnt_dscnt 0x0
	s_wait_kmcnt 0x0
	s_barrier_signal -1
	s_barrier_wait -1
	global_inv scope:SCOPE_SE
	ds_load_b128 v[52:55], v255
	ds_load_b128 v[48:51], v255 offset:1872
	ds_load_b128 v[36:39], v255 offset:13728
	;; [unrolled: 1-line block ×8, first 2 shown]
                                        ; implicit-def: $vgpr60_vgpr61
                                        ; implicit-def: $vgpr76_vgpr77
                                        ; implicit-def: $vgpr84_vgpr85
	s_and_saveexec_b32 s2, vcc_lo
	s_cbranch_execz .LBB0_5
; %bb.4:
	ds_load_b128 v[60:63], v255 offset:5616
	ds_load_b128 v[76:79], v255 offset:12480
	;; [unrolled: 1-line block ×3, first 2 shown]
.LBB0_5:
	s_wait_alu 0xfffe
	s_or_b32 exec_lo, exec_lo, s2
	s_wait_dscnt 0x4
	v_add_f64_e32 v[0:1], v[72:73], v[36:37]
	v_add_f64_e32 v[2:3], v[74:75], v[38:39]
	s_wait_dscnt 0x2
	v_add_f64_e32 v[4:5], v[68:69], v[40:41]
	v_add_f64_e32 v[6:7], v[70:71], v[42:43]
	;; [unrolled: 3-line block ×3, first 2 shown]
	v_add_f64_e32 v[12:13], v[76:77], v[84:85]
	v_add_f64_e32 v[14:15], v[78:79], v[86:87]
	;; [unrolled: 1-line block ×3, first 2 shown]
	v_add_f64_e64 v[18:19], v[74:75], -v[38:39]
	v_add_f64_e32 v[20:21], v[54:55], v[74:75]
	v_add_f64_e32 v[22:23], v[48:49], v[68:69]
	;; [unrolled: 1-line block ×7, first 2 shown]
	v_add_f64_e64 v[34:35], v[72:73], -v[36:37]
	v_add_f64_e64 v[70:71], v[70:71], -v[42:43]
	v_add_f64_e64 v[72:73], v[68:69], -v[40:41]
	v_add_f64_e64 v[66:67], v[66:67], -v[46:47]
	v_add_f64_e64 v[64:65], v[64:65], -v[44:45]
	v_add_f64_e64 v[74:75], v[78:79], -v[86:87]
	v_add_f64_e64 v[88:89], v[76:77], -v[84:85]
	s_mov_b32 s2, 0xe8584caa
	s_mov_b32 s3, 0x3febb67a
	;; [unrolled: 1-line block ×3, first 2 shown]
	s_wait_alu 0xfffe
	s_mov_b32 s10, s2
	v_add_co_u32 v104, null, 0x15f, v172
	global_wb scope:SCOPE_SE
	s_barrier_signal -1
	s_barrier_wait -1
	global_inv scope:SCOPE_SE
	v_fma_f64 v[0:1], v[0:1], -0.5, v[52:53]
	v_fma_f64 v[2:3], v[2:3], -0.5, v[54:55]
	;; [unrolled: 1-line block ×8, first 2 shown]
	v_add_f64_e32 v[76:77], v[16:17], v[36:37]
	v_add_f64_e32 v[78:79], v[20:21], v[38:39]
	;; [unrolled: 1-line block ×8, first 2 shown]
	v_fma_f64 v[52:53], v[18:19], s[2:3], v[0:1]
	s_wait_alu 0xfffe
	v_fma_f64 v[40:41], v[18:19], s[10:11], v[0:1]
	v_fma_f64 v[54:55], v[34:35], s[10:11], v[2:3]
	;; [unrolled: 1-line block ×15, first 2 shown]
	s_load_b64 s[2:3], s[0:1], 0x8
	v_add_co_u32 v210, s0, 0x75, v172
	s_wait_alu 0xf1ff
	v_add_co_ci_u32_e64 v0, null, 0, 0, s0
	v_mul_lo_u16 v0, v172, 3
	v_add_co_u32 v105, s0, 0xea, v172
	s_wait_alu 0xf1ff
	v_add_co_ci_u32_e64 v1, null, 0, 0, s0
	s_delay_alu instid0(VALU_DEP_3) | instskip(SKIP_2) | instid1(VALU_DEP_3)
	v_and_b32_e32 v0, 0xffff, v0
	v_mul_u32_u24_e32 v1, 3, v210
	v_mul_u32_u24_e32 v2, 3, v105
	v_lshlrev_b32_e32 v3, 4, v0
	v_mul_u32_u24_e32 v0, 3, v104
	s_delay_alu instid0(VALU_DEP_4)
	v_lshlrev_b32_e32 v1, 4, v1
	scratch_store_b32 off, v0, off offset:388 ; 4-byte Folded Spill
	v_lshlrev_b32_e32 v0, 4, v2
	ds_store_b128 v3, v[76:79]
	ds_store_b128 v3, v[52:55] offset:16
	scratch_store_b32 off, v3, off offset:212 ; 4-byte Folded Spill
	ds_store_b128 v3, v[40:43] offset:32
	ds_store_b128 v1, v[56:59]
	ds_store_b128 v1, v[44:47] offset:16
	scratch_store_b32 off, v1, off offset:220 ; 4-byte Folded Spill
	ds_store_b128 v1, v[68:71] offset:32
	;; [unrolled: 4-line block ×3, first 2 shown]
	s_and_saveexec_b32 s0, vcc_lo
	s_cbranch_execz .LBB0_7
; %bb.6:
	v_mul_u32_u24_e32 v0, 3, v104
	s_delay_alu instid0(VALU_DEP_1)
	v_lshlrev_b32_e32 v0, 4, v0
	ds_store_b128 v0, v[48:51]
	ds_store_b128 v0, v[84:87] offset:16
	ds_store_b128 v0, v[60:63] offset:32
.LBB0_7:
	s_wait_alu 0xfffe
	s_or_b32 exec_lo, exec_lo, s0
	v_cmp_gt_u16_e64 s0, 0x63, v172
	global_wb scope:SCOPE_SE
	s_wait_storecnt_dscnt 0x0
	s_wait_kmcnt 0x0
	s_barrier_signal -1
	s_barrier_wait -1
	global_inv scope:SCOPE_SE
                                        ; implicit-def: $vgpr100_vgpr101
	s_and_saveexec_b32 s1, s0
	s_cbranch_execz .LBB0_9
; %bb.8:
	ds_load_b128 v[76:79], v255
	ds_load_b128 v[52:55], v255 offset:1584
	ds_load_b128 v[40:43], v255 offset:3168
	;; [unrolled: 1-line block ×12, first 2 shown]
.LBB0_9:
	s_wait_alu 0xfffe
	s_or_b32 exec_lo, exec_lo, s1
	v_and_b32_e32 v38, 0xff, v172
	s_mov_b32 s14, 0x4267c47c
	s_mov_b32 s15, 0xbfddbe06
	;; [unrolled: 1-line block ×4, first 2 shown]
	v_mul_lo_u16 v0, 0xab, v38
	s_mov_b32 s13, 0x3fec55a7
	s_mov_b32 s19, 0xbfea55e2
	;; [unrolled: 1-line block ×4, first 2 shown]
	v_lshrrev_b16 v106, 9, v0
	s_mov_b32 s22, 0x66966769
	s_mov_b32 s23, 0xbfefc445
	s_mov_b32 s20, 0xebaa3ed8
	s_mov_b32 s21, 0x3fbedb7d
	v_mul_lo_u16 v0, v106, 3
	s_mov_b32 s28, 0x2ef20147
	s_mov_b32 s29, 0xbfedeba7
	;; [unrolled: 1-line block ×4, first 2 shown]
	v_sub_nc_u16 v0, v172, v0
	s_mov_b32 s48, 0x24c2f84
	s_mov_b32 s49, 0x3fe5384d
	;; [unrolled: 1-line block ×4, first 2 shown]
	v_and_b32_e32 v0, 0xff, v0
	s_mov_b32 s26, 0xd0032e0c
	s_mov_b32 s27, 0xbfe7f3cc
	;; [unrolled: 1-line block ×4, first 2 shown]
	scratch_store_b32 off, v0, off offset:164 ; 4-byte Folded Spill
	v_mul_u32_u24_e32 v0, 12, v0
	s_mov_b32 s30, 0x93053d00
	s_mov_b32 s31, 0xbfef11f4
	v_and_b32_e32 v36, 0xffff, v106
	s_mov_b32 s39, 0x3fefc445
	v_lshlrev_b32_e32 v2, 4, v0
	s_mov_b32 s38, s22
	s_mov_b32 s37, 0x3fddbe06
	s_wait_alu 0xfffe
	s_mov_b32 s36, s14
	s_clause 0x1
	global_load_b128 v[3:6], v2, s[2:3]
	global_load_b128 v[7:10], v2, s[2:3] offset:16
	s_mov_b32 s41, 0x3fedeba7
	s_mov_b32 s40, s28
	;; [unrolled: 1-line block ×6, first 2 shown]
	s_wait_loadcnt_dscnt 0x10b
	v_mul_f64_e32 v[0:1], v[54:55], v[5:6]
	scratch_store_b128 off, v[3:6], off offset:172 ; 16-byte Folded Spill
	v_fma_f64 v[174:175], v[52:53], v[3:4], -v[0:1]
	v_mul_f64_e32 v[0:1], v[52:53], v[5:6]
	s_delay_alu instid0(VALU_DEP_1)
	v_fma_f64 v[176:177], v[54:55], v[3:4], v[0:1]
	s_clause 0x1
	global_load_b128 v[88:91], v2, s[2:3] offset:176
	global_load_b128 v[3:6], v2, s[2:3] offset:160
	s_wait_loadcnt 0x2
	scratch_store_b128 off, v[7:10], off offset:308 ; 16-byte Folded Spill
	s_wait_loadcnt_dscnt 0x100
	v_mul_f64_e32 v[0:1], v[100:101], v[90:91]
	s_wait_loadcnt 0x0
	scratch_store_b128 off, v[3:6], off offset:340 ; 16-byte Folded Spill
	v_fma_f64 v[52:53], v[102:103], v[88:89], v[0:1]
	v_mul_f64_e32 v[0:1], v[102:103], v[90:91]
	s_delay_alu instid0(VALU_DEP_2) | instskip(NEXT) | instid1(VALU_DEP_2)
	v_add_f64_e64 v[22:23], v[176:177], -v[52:53]
	v_fma_f64 v[54:55], v[100:101], v[88:89], -v[0:1]
	v_mul_f64_e32 v[0:1], v[42:43], v[9:10]
	v_add_f64_e32 v[24:25], v[176:177], v[52:53]
	s_delay_alu instid0(VALU_DEP_4) | instskip(NEXT) | instid1(VALU_DEP_4)
	v_mul_f64_e32 v[20:21], s[14:15], v[22:23]
	v_add_f64_e32 v[253:254], v[174:175], v[54:55]
	s_delay_alu instid0(VALU_DEP_4) | instskip(SKIP_4) | instid1(VALU_DEP_4)
	v_fma_f64 v[64:65], v[40:41], v[7:8], -v[0:1]
	v_mul_f64_e32 v[0:1], v[40:41], v[9:10]
	v_add_f64_e64 v[28:29], v[174:175], -v[54:55]
	v_mul_f64_e32 v[30:31], s[18:19], v[22:23]
	v_mul_f64_e32 v[154:155], s[28:29], v[22:23]
	v_fma_f64 v[66:67], v[42:43], v[7:8], v[0:1]
	v_mul_f64_e32 v[0:1], v[60:61], v[5:6]
	v_mul_f64_e32 v[26:27], s[14:15], v[28:29]
	;; [unrolled: 1-line block ×5, first 2 shown]
	v_fma_f64 v[39:40], v[62:63], v[3:4], v[0:1]
	v_mul_f64_e32 v[0:1], v[62:63], v[5:6]
	s_delay_alu instid0(VALU_DEP_2) | instskip(NEXT) | instid1(VALU_DEP_2)
	v_add_f64_e64 v[160:161], v[66:67], -v[39:40]
	v_fma_f64 v[41:42], v[60:61], v[3:4], -v[0:1]
	s_clause 0x1
	global_load_b128 v[7:10], v2, s[2:3] offset:32
	global_load_b128 v[3:6], v2, s[2:3] offset:48
	v_add_f64_e32 v[152:153], v[66:67], v[39:40]
	v_mul_f64_e32 v[219:220], s[48:49], v[160:161]
	v_add_f64_e64 v[162:163], v[64:65], -v[41:42]
	s_delay_alu instid0(VALU_DEP_1) | instskip(SKIP_1) | instid1(VALU_DEP_2)
	v_mul_f64_e32 v[215:216], s[34:35], v[162:163]
	v_mul_f64_e32 v[231:232], s[48:49], v[162:163]
	v_fma_f64 v[124:125], v[152:153], s[30:31], -v[215:216]
	s_delay_alu instid0(VALU_DEP_2)
	v_fma_f64 v[237:238], v[152:153], s[26:27], -v[231:232]
	s_wait_loadcnt 0x1
	v_mul_f64_e32 v[0:1], v[58:59], v[9:10]
	scratch_store_b128 off, v[7:10], off offset:260 ; 16-byte Folded Spill
	v_fma_f64 v[60:61], v[56:57], v[7:8], -v[0:1]
	v_mul_f64_e32 v[0:1], v[56:57], v[9:10]
	s_delay_alu instid0(VALU_DEP_1)
	v_fma_f64 v[56:57], v[58:59], v[7:8], v[0:1]
	s_clause 0x1
	global_load_b128 v[11:14], v2, s[2:3] offset:144
	global_load_b128 v[7:10], v2, s[2:3] offset:128
	s_wait_loadcnt 0x2
	scratch_store_b128 off, v[3:6], off offset:188 ; 16-byte Folded Spill
	s_wait_loadcnt 0x1
	v_mul_f64_e32 v[0:1], v[86:87], v[13:14]
	s_wait_loadcnt 0x0
	s_clause 0x1
	scratch_store_b128 off, v[7:10], off offset:276
	scratch_store_b128 off, v[11:14], off offset:292
	v_fma_f64 v[128:129], v[84:85], v[11:12], -v[0:1]
	v_mul_f64_e32 v[0:1], v[84:85], v[13:14]
	s_delay_alu instid0(VALU_DEP_2) | instskip(NEXT) | instid1(VALU_DEP_2)
	v_add_f64_e32 v[156:157], v[60:61], v[128:129]
	v_fma_f64 v[130:131], v[86:87], v[11:12], v[0:1]
	v_mul_f64_e32 v[0:1], v[46:47], v[5:6]
	v_add_f64_e64 v[178:179], v[60:61], -v[128:129]
	s_delay_alu instid0(VALU_DEP_3) | instskip(NEXT) | instid1(VALU_DEP_3)
	v_add_f64_e64 v[164:165], v[56:57], -v[130:131]
	v_fma_f64 v[140:141], v[44:45], v[3:4], -v[0:1]
	v_mul_f64_e32 v[0:1], v[44:45], v[5:6]
	v_mul_f64_e32 v[43:44], s[18:19], v[160:161]
	v_add_f64_e32 v[166:167], v[56:57], v[130:131]
	v_mul_f64_e32 v[223:224], s[40:41], v[178:179]
	v_mul_f64_e32 v[247:248], s[36:37], v[178:179]
	;; [unrolled: 1-line block ×3, first 2 shown]
	v_fma_f64 v[142:143], v[46:47], v[3:4], v[0:1]
	v_mul_f64_e32 v[0:1], v[50:51], v[9:10]
	v_mul_f64_e32 v[45:46], s[18:19], v[162:163]
	s_delay_alu instid0(VALU_DEP_2) | instskip(SKIP_2) | instid1(VALU_DEP_3)
	v_fma_f64 v[136:137], v[48:49], v[7:8], -v[0:1]
	v_mul_f64_e32 v[0:1], v[48:49], v[9:10]
	v_mul_f64_e32 v[47:48], s[22:23], v[164:165]
	v_add_f64_e32 v[170:171], v[140:141], v[136:137]
	s_delay_alu instid0(VALU_DEP_3)
	v_fma_f64 v[138:139], v[50:51], v[7:8], v[0:1]
	s_clause 0x1
	global_load_b128 v[3:6], v2, s[2:3] offset:64
	global_load_b128 v[7:10], v2, s[2:3] offset:80
	v_mul_f64_e32 v[49:50], s[22:23], v[178:179]
	v_add_f64_e64 v[190:191], v[140:141], -v[136:137]
	v_add_f64_e64 v[188:189], v[142:143], -v[138:139]
	v_add_f64_e32 v[180:181], v[142:143], v[138:139]
	s_delay_alu instid0(VALU_DEP_3)
	v_mul_f64_e32 v[62:63], s[28:29], v[190:191]
	v_mul_f64_e32 v[229:230], s[36:37], v[190:191]
	;; [unrolled: 1-line block ×5, first 2 shown]
	s_wait_loadcnt 0x1
	v_mul_f64_e32 v[0:1], v[70:71], v[5:6]
	scratch_store_b128 off, v[3:6], off offset:228 ; 16-byte Folded Spill
	v_fma_f64 v[144:145], v[68:69], v[3:4], -v[0:1]
	v_mul_f64_e32 v[0:1], v[68:69], v[5:6]
	s_delay_alu instid0(VALU_DEP_1)
	v_fma_f64 v[146:147], v[70:71], v[3:4], v[0:1]
	s_clause 0x1
	global_load_b128 v[11:14], v2, s[2:3] offset:112
	global_load_b128 v[2:5], v2, s[2:3] offset:96
	s_wait_loadcnt 0x2
	s_clause 0x1
	scratch_store_b128 off, v[7:10], off offset:244
	scratch_store_b32 off, v36, off offset:168
	s_wait_loadcnt 0x1
	v_mul_f64_e32 v[0:1], v[98:99], v[13:14]
	scratch_store_b128 off, v[11:14], off offset:356 ; 16-byte Folded Spill
	s_wait_loadcnt 0x0
	scratch_store_b128 off, v[2:5], off offset:324 ; 16-byte Folded Spill
	global_wb scope:SCOPE_SE
	s_wait_storecnt 0x0
	s_barrier_signal -1
	s_barrier_wait -1
	global_inv scope:SCOPE_SE
	v_fma_f64 v[148:149], v[96:97], v[11:12], -v[0:1]
	v_mul_f64_e32 v[0:1], v[96:97], v[13:14]
	s_delay_alu instid0(VALU_DEP_2) | instskip(NEXT) | instid1(VALU_DEP_2)
	v_add_f64_e32 v[184:185], v[144:145], v[148:149]
	v_fma_f64 v[96:97], v[98:99], v[11:12], v[0:1]
	v_mul_f64_e32 v[0:1], v[82:83], v[9:10]
	v_add_f64_e64 v[206:207], v[144:145], -v[148:149]
	s_delay_alu instid0(VALU_DEP_3) | instskip(NEXT) | instid1(VALU_DEP_3)
	v_add_f64_e64 v[200:201], v[146:147], -v[96:97]
	v_fma_f64 v[98:99], v[80:81], v[7:8], -v[0:1]
	v_mul_f64_e32 v[0:1], v[80:81], v[9:10]
	v_add_f64_e32 v[196:197], v[146:147], v[96:97]
	v_mul_f64_e32 v[198:199], s[42:43], v[206:207]
	v_mul_f64_e32 v[233:234], s[18:19], v[206:207]
	;; [unrolled: 1-line block ×5, first 2 shown]
	v_fma_f64 v[82:83], v[82:83], v[7:8], v[0:1]
	v_mul_f64_e32 v[0:1], v[94:95], v[4:5]
	v_mul_f64_e32 v[6:7], s[28:29], v[162:163]
	s_delay_alu instid0(VALU_DEP_2) | instskip(SKIP_2) | instid1(VALU_DEP_4)
	v_fma_f64 v[80:81], v[92:93], v[2:3], -v[0:1]
	v_mul_f64_e32 v[0:1], v[92:93], v[4:5]
	v_fma_f64 v[4:5], v[152:153], s[10:11], -v[45:46]
	v_fma_f64 v[8:9], v[152:153], s[24:25], -v[6:7]
	s_delay_alu instid0(VALU_DEP_4) | instskip(NEXT) | instid1(VALU_DEP_4)
	v_add_f64_e32 v[192:193], v[98:99], v[80:81]
	v_fma_f64 v[92:93], v[94:95], v[2:3], v[0:1]
	v_fma_f64 v[0:1], v[253:254], s[12:13], v[20:21]
	v_add_f64_e32 v[94:95], v[64:65], v[41:42]
	v_add_f64_e64 v[213:214], v[98:99], -v[80:81]
	s_delay_alu instid0(VALU_DEP_4) | instskip(NEXT) | instid1(VALU_DEP_4)
	v_add_f64_e64 v[211:212], v[82:83], -v[92:93]
	v_add_f64_e32 v[0:1], v[76:77], v[0:1]
	s_delay_alu instid0(VALU_DEP_4)
	v_fma_f64 v[2:3], v[94:95], s[10:11], v[43:44]
	v_add_f64_e32 v[202:203], v[82:83], v[92:93]
	v_mul_f64_e32 v[204:205], s[34:35], v[213:214]
	v_mul_f64_e32 v[217:218], s[36:37], v[213:214]
	;; [unrolled: 1-line block ×5, first 2 shown]
	v_add_f64_e32 v[0:1], v[2:3], v[0:1]
	v_fma_f64 v[2:3], v[24:25], s[12:13], -v[26:27]
	s_delay_alu instid0(VALU_DEP_1) | instskip(NEXT) | instid1(VALU_DEP_1)
	v_add_f64_e32 v[2:3], v[78:79], v[2:3]
	v_add_f64_e32 v[2:3], v[4:5], v[2:3]
	v_fma_f64 v[4:5], v[156:157], s[20:21], v[47:48]
	s_delay_alu instid0(VALU_DEP_1) | instskip(SKIP_1) | instid1(VALU_DEP_1)
	v_add_f64_e32 v[0:1], v[4:5], v[0:1]
	v_fma_f64 v[4:5], v[166:167], s[20:21], -v[49:50]
	v_add_f64_e32 v[2:3], v[4:5], v[2:3]
	v_fma_f64 v[4:5], v[170:171], s[24:25], v[58:59]
	s_delay_alu instid0(VALU_DEP_1) | instskip(SKIP_1) | instid1(VALU_DEP_1)
	v_add_f64_e32 v[0:1], v[4:5], v[0:1]
	v_fma_f64 v[4:5], v[180:181], s[24:25], -v[62:63]
	;; [unrolled: 5-line block ×4, first 2 shown]
	v_add_f64_e32 v[134:135], v[0:1], v[2:3]
	v_fma_f64 v[0:1], v[253:254], s[10:11], v[30:31]
	s_delay_alu instid0(VALU_DEP_1) | instskip(SKIP_1) | instid1(VALU_DEP_1)
	v_add_f64_e32 v[2:3], v[76:77], v[0:1]
	v_mul_f64_e32 v[0:1], s[28:29], v[160:161]
	v_fma_f64 v[4:5], v[94:95], s[24:25], v[0:1]
	s_delay_alu instid0(VALU_DEP_1) | instskip(SKIP_1) | instid1(VALU_DEP_1)
	v_add_f64_e32 v[4:5], v[4:5], v[2:3]
	v_fma_f64 v[2:3], v[24:25], s[10:11], -v[32:33]
	v_add_f64_e32 v[2:3], v[78:79], v[2:3]
	s_delay_alu instid0(VALU_DEP_1) | instskip(SKIP_1) | instid1(VALU_DEP_1)
	v_add_f64_e32 v[8:9], v[8:9], v[2:3]
	v_mul_f64_e32 v[2:3], s[34:35], v[164:165]
	v_fma_f64 v[10:11], v[156:157], s[30:31], v[2:3]
	s_delay_alu instid0(VALU_DEP_1) | instskip(SKIP_1) | instid1(VALU_DEP_1)
	v_add_f64_e32 v[12:13], v[10:11], v[4:5]
	v_mul_f64_e32 v[10:11], s[34:35], v[178:179]
	v_fma_f64 v[4:5], v[166:167], s[30:31], -v[10:11]
	s_delay_alu instid0(VALU_DEP_1) | instskip(SKIP_1) | instid1(VALU_DEP_1)
	v_add_f64_e32 v[8:9], v[4:5], v[8:9]
	v_mul_f64_e32 v[4:5], s[48:49], v[188:189]
	v_fma_f64 v[14:15], v[170:171], s[26:27], v[4:5]
	s_delay_alu instid0(VALU_DEP_1) | instskip(SKIP_1) | instid1(VALU_DEP_1)
	v_add_f64_e32 v[14:15], v[14:15], v[12:13]
	v_mul_f64_e32 v[12:13], s[48:49], v[190:191]
	v_fma_f64 v[16:17], v[180:181], s[26:27], -v[12:13]
	;; [unrolled: 8-line block ×3, first 2 shown]
	s_delay_alu instid0(VALU_DEP_1) | instskip(SKIP_1) | instid1(VALU_DEP_1)
	v_add_f64_e32 v[16:17], v[14:15], v[16:17]
	v_mul_f64_e32 v[14:15], s[36:37], v[211:212]
	v_fma_f64 v[116:117], v[192:193], s[12:13], v[14:15]
	s_delay_alu instid0(VALU_DEP_1) | instskip(SKIP_1) | instid1(VALU_DEP_1)
	v_add_f64_e32 v[120:121], v[116:117], v[34:35]
	v_fma_f64 v[34:35], v[202:203], s[12:13], -v[217:218]
	v_add_f64_e32 v[122:123], v[34:35], v[16:17]
	v_mul_f64_e32 v[34:35], s[22:23], v[22:23]
	s_delay_alu instid0(VALU_DEP_1) | instskip(NEXT) | instid1(VALU_DEP_1)
	v_fma_f64 v[16:17], v[253:254], s[20:21], v[34:35]
	v_add_f64_e32 v[116:117], v[76:77], v[16:17]
	v_mul_f64_e32 v[16:17], s[34:35], v[160:161]
	s_delay_alu instid0(VALU_DEP_1) | instskip(NEXT) | instid1(VALU_DEP_1)
	v_fma_f64 v[118:119], v[94:95], s[30:31], v[16:17]
	v_add_f64_e32 v[116:117], v[118:119], v[116:117]
	v_fma_f64 v[118:119], v[24:25], s[20:21], -v[150:151]
	s_delay_alu instid0(VALU_DEP_1) | instskip(NEXT) | instid1(VALU_DEP_1)
	v_add_f64_e32 v[118:119], v[78:79], v[118:119]
	v_add_f64_e32 v[118:119], v[124:125], v[118:119]
	v_fma_f64 v[124:125], v[156:157], s[24:25], v[208:209]
	s_delay_alu instid0(VALU_DEP_1) | instskip(SKIP_1) | instid1(VALU_DEP_1)
	v_add_f64_e32 v[116:117], v[124:125], v[116:117]
	v_fma_f64 v[124:125], v[166:167], s[24:25], -v[223:224]
	v_add_f64_e32 v[118:119], v[124:125], v[118:119]
	v_fma_f64 v[124:125], v[170:171], s[12:13], v[221:222]
	s_delay_alu instid0(VALU_DEP_1) | instskip(SKIP_1) | instid1(VALU_DEP_1)
	v_add_f64_e32 v[116:117], v[124:125], v[116:117]
	v_fma_f64 v[124:125], v[180:181], s[12:13], -v[229:230]
	v_add_f64_e32 v[118:119], v[124:125], v[118:119]
	v_fma_f64 v[124:125], v[184:185], s[10:11], v[225:226]
	s_delay_alu instid0(VALU_DEP_1) | instskip(SKIP_1) | instid1(VALU_DEP_1)
	v_add_f64_e32 v[116:117], v[124:125], v[116:117]
	v_fma_f64 v[124:125], v[196:197], s[10:11], -v[233:234]
	v_add_f64_e32 v[118:119], v[124:125], v[118:119]
	v_fma_f64 v[124:125], v[192:193], s[26:27], v[227:228]
	s_delay_alu instid0(VALU_DEP_1) | instskip(SKIP_1) | instid1(VALU_DEP_1)
	v_add_f64_e32 v[124:125], v[124:125], v[116:117]
	v_fma_f64 v[116:117], v[202:203], s[26:27], -v[235:236]
	v_add_f64_e32 v[126:127], v[116:117], v[118:119]
	v_fma_f64 v[116:117], v[253:254], s[24:25], v[154:155]
	v_fma_f64 v[118:119], v[94:95], s[26:27], v[219:220]
	s_delay_alu instid0(VALU_DEP_2) | instskip(NEXT) | instid1(VALU_DEP_1)
	v_add_f64_e32 v[116:117], v[76:77], v[116:117]
	v_add_f64_e32 v[116:117], v[118:119], v[116:117]
	v_fma_f64 v[118:119], v[24:25], s[24:25], -v[158:159]
	s_delay_alu instid0(VALU_DEP_1) | instskip(NEXT) | instid1(VALU_DEP_1)
	v_add_f64_e32 v[118:119], v[78:79], v[118:119]
	v_add_f64_e32 v[118:119], v[237:238], v[118:119]
	v_mul_f64_e32 v[237:238], s[36:37], v[164:165]
	s_delay_alu instid0(VALU_DEP_1) | instskip(NEXT) | instid1(VALU_DEP_1)
	v_fma_f64 v[239:240], v[156:157], s[12:13], v[237:238]
	v_add_f64_e32 v[116:117], v[239:240], v[116:117]
	v_fma_f64 v[239:240], v[166:167], s[12:13], -v[247:248]
	s_delay_alu instid0(VALU_DEP_1) | instskip(SKIP_1) | instid1(VALU_DEP_1)
	v_add_f64_e32 v[118:119], v[239:240], v[118:119]
	v_mul_f64_e32 v[239:240], s[22:23], v[188:189]
	v_fma_f64 v[241:242], v[170:171], s[20:21], v[239:240]
	s_delay_alu instid0(VALU_DEP_1) | instskip(SKIP_1) | instid1(VALU_DEP_1)
	v_add_f64_e32 v[116:117], v[241:242], v[116:117]
	v_fma_f64 v[241:242], v[180:181], s[20:21], -v[245:246]
	v_add_f64_e32 v[118:119], v[241:242], v[118:119]
	v_mul_f64_e32 v[241:242], s[46:47], v[200:201]
	s_delay_alu instid0(VALU_DEP_1) | instskip(NEXT) | instid1(VALU_DEP_1)
	v_fma_f64 v[243:244], v[184:185], s[30:31], v[241:242]
	v_add_f64_e32 v[116:117], v[243:244], v[116:117]
	v_fma_f64 v[243:244], v[196:197], s[30:31], -v[249:250]
	s_delay_alu instid0(VALU_DEP_1) | instskip(SKIP_1) | instid1(VALU_DEP_1)
	v_add_f64_e32 v[118:119], v[243:244], v[118:119]
	v_mul_f64_e32 v[243:244], s[44:45], v[211:212]
	v_fma_f64 v[251:252], v[192:193], s[10:11], v[243:244]
	s_delay_alu instid0(VALU_DEP_1) | instskip(SKIP_1) | instid1(VALU_DEP_1)
	v_add_f64_e32 v[116:117], v[251:252], v[116:117]
	v_mul_f64_e32 v[251:252], s[44:45], v[213:214]
	v_fma_f64 v[102:103], v[202:203], s[10:11], -v[251:252]
	s_delay_alu instid0(VALU_DEP_1)
	v_add_f64_e32 v[118:119], v[102:103], v[118:119]
	s_and_saveexec_b32 s1, s0
	s_cbranch_execz .LBB0_11
; %bb.10:
	v_mul_f64_e32 v[102:103], s[30:31], v[24:25]
	v_mul_f64_e32 v[100:101], s[26:27], v[24:25]
	v_mov_b32_e32 v36, v172
	v_add_f64_e32 v[70:71], v[78:79], v[176:177]
	v_add_f64_e32 v[72:73], v[76:77], v[174:175]
	v_mul_f64_e32 v[182:183], s[20:21], v[202:203]
	v_mul_f64_e32 v[186:187], s[38:39], v[211:212]
	scratch_load_b32 v37, off, off offset:164 ; 4-byte Folded Reload
	v_fma_f64 v[106:107], v[28:29], s[46:47], v[102:103]
	v_fma_f64 v[102:103], v[28:29], s[34:35], v[102:103]
	;; [unrolled: 1-line block ×4, first 2 shown]
	v_mul_f64_e32 v[100:101], s[24:25], v[24:25]
	v_add_f64_e32 v[106:107], v[78:79], v[106:107]
	v_add_f64_e32 v[102:103], v[78:79], v[102:103]
	;; [unrolled: 1-line block ×5, first 2 shown]
	v_mul_f64_e32 v[158:159], s[24:25], v[253:254]
	s_delay_alu instid0(VALU_DEP_2) | instskip(NEXT) | instid1(VALU_DEP_2)
	v_add_f64_e32 v[100:101], v[78:79], v[100:101]
	v_add_f64_e64 v[154:155], v[158:159], -v[154:155]
	v_mul_f64_e32 v[158:159], s[20:21], v[24:25]
	s_delay_alu instid0(VALU_DEP_2) | instskip(NEXT) | instid1(VALU_DEP_2)
	v_add_f64_e32 v[154:155], v[76:77], v[154:155]
	v_add_f64_e32 v[150:151], v[150:151], v[158:159]
	v_mul_f64_e32 v[158:159], s[20:21], v[253:254]
	s_delay_alu instid0(VALU_DEP_2) | instskip(NEXT) | instid1(VALU_DEP_2)
	v_add_f64_e32 v[150:151], v[78:79], v[150:151]
	v_add_f64_e64 v[34:35], v[158:159], -v[34:35]
	v_mul_f64_e32 v[158:159], s[10:11], v[24:25]
	v_mul_f64_e32 v[24:25], s[12:13], v[24:25]
	s_delay_alu instid0(VALU_DEP_3) | instskip(NEXT) | instid1(VALU_DEP_3)
	v_add_f64_e32 v[34:35], v[76:77], v[34:35]
	v_add_f64_e32 v[32:33], v[32:33], v[158:159]
	v_mul_f64_e32 v[158:159], s[10:11], v[253:254]
	s_delay_alu instid0(VALU_DEP_4)
	v_add_f64_e32 v[24:25], v[26:27], v[24:25]
	v_mul_f64_e32 v[26:27], s[34:35], v[22:23]
	v_mul_f64_e32 v[22:23], s[42:43], v[22:23]
	v_add_f64_e32 v[32:33], v[78:79], v[32:33]
	v_add_f64_e64 v[30:31], v[158:159], -v[30:31]
	v_add_f64_e32 v[78:79], v[78:79], v[24:25]
	v_fma_f64 v[158:159], v[253:254], s[30:31], v[26:27]
	v_fma_f64 v[26:27], v[253:254], s[30:31], -v[26:27]
	v_fma_f64 v[172:173], v[253:254], s[26:27], v[22:23]
	v_fma_f64 v[22:23], v[253:254], s[26:27], -v[22:23]
	v_mul_f64_e32 v[253:254], s[12:13], v[253:254]
	v_mul_f64_e32 v[24:25], s[12:13], v[152:153]
	v_add_f64_e32 v[30:31], v[76:77], v[30:31]
	v_add_f64_e32 v[158:159], v[76:77], v[158:159]
	;; [unrolled: 1-line block ×4, first 2 shown]
	v_add_f64_e64 v[20:21], v[253:254], -v[20:21]
	v_add_f64_e32 v[253:254], v[76:77], v[22:23]
	s_delay_alu instid0(VALU_DEP_2) | instskip(SKIP_2) | instid1(VALU_DEP_2)
	v_add_f64_e32 v[76:77], v[76:77], v[20:21]
	v_fma_f64 v[20:21], v[162:163], s[14:15], v[24:25]
	v_fma_f64 v[24:25], v[162:163], s[36:37], v[24:25]
	v_add_f64_e32 v[20:21], v[20:21], v[106:107]
	v_mul_f64_e32 v[106:107], s[36:37], v[160:161]
	s_delay_alu instid0(VALU_DEP_3) | instskip(NEXT) | instid1(VALU_DEP_2)
	v_add_f64_e32 v[24:25], v[24:25], v[102:103]
	v_fma_f64 v[22:23], v[94:95], s[12:13], v[106:107]
	v_fma_f64 v[102:103], v[94:95], s[12:13], -v[106:107]
	v_fma_f64 v[106:107], v[192:193], s[20:21], -v[186:187]
	s_delay_alu instid0(VALU_DEP_3) | instskip(SKIP_1) | instid1(VALU_DEP_4)
	v_add_f64_e32 v[22:23], v[22:23], v[158:159]
	v_mul_f64_e32 v[158:159], s[26:27], v[166:167]
	v_add_f64_e32 v[26:27], v[102:103], v[26:27]
	s_delay_alu instid0(VALU_DEP_2) | instskip(SKIP_1) | instid1(VALU_DEP_2)
	v_fma_f64 v[174:175], v[178:179], s[48:49], v[158:159]
	v_fma_f64 v[102:103], v[178:179], s[42:43], v[158:159]
	v_add_f64_e32 v[20:21], v[174:175], v[20:21]
	v_mul_f64_e32 v[174:175], s[42:43], v[164:165]
	s_delay_alu instid0(VALU_DEP_3) | instskip(NEXT) | instid1(VALU_DEP_2)
	v_add_f64_e32 v[24:25], v[102:103], v[24:25]
	v_fma_f64 v[176:177], v[156:157], s[26:27], v[174:175]
	v_fma_f64 v[102:103], v[156:157], s[26:27], -v[174:175]
	s_delay_alu instid0(VALU_DEP_2) | instskip(SKIP_1) | instid1(VALU_DEP_3)
	v_add_f64_e32 v[22:23], v[176:177], v[22:23]
	v_mul_f64_e32 v[176:177], s[10:11], v[180:181]
	v_add_f64_e32 v[26:27], v[102:103], v[26:27]
	s_delay_alu instid0(VALU_DEP_2) | instskip(SKIP_1) | instid1(VALU_DEP_2)
	v_fma_f64 v[108:109], v[190:191], s[18:19], v[176:177]
	v_fma_f64 v[102:103], v[190:191], s[44:45], v[176:177]
	v_add_f64_e32 v[20:21], v[108:109], v[20:21]
	v_mul_f64_e32 v[108:109], s[44:45], v[188:189]
	s_delay_alu instid0(VALU_DEP_3) | instskip(NEXT) | instid1(VALU_DEP_2)
	v_add_f64_e32 v[24:25], v[102:103], v[24:25]
	v_fma_f64 v[110:111], v[170:171], s[10:11], v[108:109]
	v_fma_f64 v[102:103], v[170:171], s[10:11], -v[108:109]
	v_mul_f64_e32 v[108:109], s[28:29], v[211:212]
	s_delay_alu instid0(VALU_DEP_3) | instskip(SKIP_1) | instid1(VALU_DEP_4)
	v_add_f64_e32 v[22:23], v[110:111], v[22:23]
	v_mul_f64_e32 v[110:111], s[24:25], v[196:197]
	v_add_f64_e32 v[26:27], v[102:103], v[26:27]
	s_delay_alu instid0(VALU_DEP_2) | instskip(SKIP_2) | instid1(VALU_DEP_3)
	v_fma_f64 v[112:113], v[206:207], s[40:41], v[110:111]
	v_fma_f64 v[102:103], v[206:207], s[28:29], v[110:111]
	v_mul_f64_e32 v[110:111], s[24:25], v[202:203]
	v_add_f64_e32 v[20:21], v[112:113], v[20:21]
	v_mul_f64_e32 v[112:113], s[28:29], v[200:201]
	s_delay_alu instid0(VALU_DEP_4) | instskip(NEXT) | instid1(VALU_DEP_2)
	v_add_f64_e32 v[24:25], v[102:103], v[24:25]
	v_fma_f64 v[102:103], v[184:185], s[24:25], -v[112:113]
	v_fma_f64 v[114:115], v[184:185], s[24:25], v[112:113]
	s_delay_alu instid0(VALU_DEP_2) | instskip(SKIP_1) | instid1(VALU_DEP_3)
	v_add_f64_e32 v[102:103], v[102:103], v[26:27]
	v_fma_f64 v[26:27], v[213:214], s[38:39], v[182:183]
	v_add_f64_e32 v[114:115], v[114:115], v[22:23]
	v_fma_f64 v[22:23], v[213:214], s[22:23], v[182:183]
	s_delay_alu instid0(VALU_DEP_3) | instskip(SKIP_2) | instid1(VALU_DEP_4)
	v_add_f64_e32 v[26:27], v[26:27], v[24:25]
	v_add_f64_e32 v[24:25], v[106:107], v[102:103]
	v_mul_f64_e32 v[102:103], s[24:25], v[152:153]
	v_add_f64_e32 v[22:23], v[22:23], v[20:21]
	v_fma_f64 v[20:21], v[192:193], s[20:21], v[186:187]
	s_delay_alu instid0(VALU_DEP_3) | instskip(SKIP_1) | instid1(VALU_DEP_3)
	v_add_f64_e32 v[6:7], v[6:7], v[102:103]
	v_mul_f64_e32 v[102:103], s[24:25], v[94:95]
	v_add_f64_e32 v[20:21], v[20:21], v[114:115]
	s_delay_alu instid0(VALU_DEP_3) | instskip(NEXT) | instid1(VALU_DEP_3)
	v_add_f64_e32 v[6:7], v[6:7], v[32:33]
	v_add_f64_e64 v[0:1], v[102:103], -v[0:1]
	v_mul_f64_e32 v[102:103], s[30:31], v[166:167]
	v_mul_f64_e32 v[32:33], s[30:31], v[184:185]
	s_delay_alu instid0(VALU_DEP_3) | instskip(NEXT) | instid1(VALU_DEP_3)
	v_add_f64_e32 v[0:1], v[0:1], v[30:31]
	v_add_f64_e32 v[10:11], v[10:11], v[102:103]
	v_mul_f64_e32 v[102:103], s[30:31], v[156:157]
	v_mul_f64_e32 v[30:31], s[20:21], v[184:185]
	v_add_f64_e64 v[32:33], v[32:33], -v[241:242]
	s_delay_alu instid0(VALU_DEP_4) | instskip(NEXT) | instid1(VALU_DEP_4)
	v_add_f64_e32 v[6:7], v[10:11], v[6:7]
	v_add_f64_e64 v[2:3], v[102:103], -v[2:3]
	v_mul_f64_e32 v[102:103], s[26:27], v[180:181]
	v_add_f64_e64 v[8:9], v[30:31], -v[8:9]
	v_mul_f64_e32 v[10:11], s[24:25], v[156:157]
	v_mul_f64_e32 v[30:31], s[30:31], v[196:197]
	v_add_f64_e32 v[0:1], v[2:3], v[0:1]
	v_add_f64_e32 v[12:13], v[12:13], v[102:103]
	v_mul_f64_e32 v[102:103], s[26:27], v[170:171]
	v_mul_f64_e32 v[2:3], s[12:13], v[202:203]
	v_add_f64_e64 v[10:11], v[10:11], -v[208:209]
	v_add_f64_e32 v[30:31], v[249:250], v[30:31]
	v_add_f64_e32 v[6:7], v[12:13], v[6:7]
	v_add_f64_e64 v[4:5], v[102:103], -v[4:5]
	v_mul_f64_e32 v[102:103], s[20:21], v[196:197]
	v_add_f64_e32 v[2:3], v[217:218], v[2:3]
	v_mul_f64_e32 v[12:13], s[12:13], v[180:181]
	s_delay_alu instid0(VALU_DEP_4) | instskip(NEXT) | instid1(VALU_DEP_4)
	v_add_f64_e32 v[0:1], v[4:5], v[0:1]
	v_add_f64_e32 v[18:19], v[18:19], v[102:103]
	v_mul_f64_e32 v[4:5], s[12:13], v[192:193]
	s_delay_alu instid0(VALU_DEP_4) | instskip(NEXT) | instid1(VALU_DEP_4)
	v_add_f64_e32 v[12:13], v[229:230], v[12:13]
	v_add_f64_e32 v[0:1], v[8:9], v[0:1]
	s_delay_alu instid0(VALU_DEP_4) | instskip(NEXT) | instid1(VALU_DEP_4)
	v_add_f64_e32 v[6:7], v[18:19], v[6:7]
	v_add_f64_e64 v[4:5], v[4:5], -v[14:15]
	v_mul_f64_e32 v[8:9], s[24:25], v[166:167]
	v_mul_f64_e32 v[14:15], s[12:13], v[170:171]
	;; [unrolled: 1-line block ×3, first 2 shown]
	v_add_f64_e32 v[2:3], v[2:3], v[6:7]
	v_add_f64_e32 v[0:1], v[4:5], v[0:1]
	v_mul_f64_e32 v[4:5], s[30:31], v[152:153]
	v_mul_f64_e32 v[6:7], s[30:31], v[94:95]
	v_add_f64_e32 v[8:9], v[223:224], v[8:9]
	v_add_f64_e64 v[14:15], v[14:15], -v[221:222]
	v_add_f64_e64 v[18:19], v[18:19], -v[225:226]
	v_add_f64_e32 v[4:5], v[215:216], v[4:5]
	v_add_f64_e64 v[6:7], v[6:7], -v[16:17]
	v_mul_f64_e32 v[16:17], s[10:11], v[196:197]
	s_delay_alu instid0(VALU_DEP_3) | instskip(NEXT) | instid1(VALU_DEP_3)
	v_add_f64_e32 v[4:5], v[4:5], v[150:151]
	v_add_f64_e32 v[6:7], v[6:7], v[34:35]
	s_delay_alu instid0(VALU_DEP_3) | instskip(NEXT) | instid1(VALU_DEP_3)
	v_add_f64_e32 v[16:17], v[233:234], v[16:17]
	v_add_f64_e32 v[4:5], v[8:9], v[4:5]
	s_delay_alu instid0(VALU_DEP_3) | instskip(SKIP_2) | instid1(VALU_DEP_4)
	v_add_f64_e32 v[6:7], v[10:11], v[6:7]
	v_mul_f64_e32 v[8:9], s[26:27], v[202:203]
	v_mul_f64_e32 v[10:11], s[26:27], v[192:193]
	v_add_f64_e32 v[4:5], v[12:13], v[4:5]
	s_delay_alu instid0(VALU_DEP_4) | instskip(NEXT) | instid1(VALU_DEP_4)
	v_add_f64_e32 v[6:7], v[14:15], v[6:7]
	v_add_f64_e32 v[8:9], v[235:236], v[8:9]
	s_delay_alu instid0(VALU_DEP_4)
	v_add_f64_e64 v[10:11], v[10:11], -v[227:228]
	v_mul_f64_e32 v[14:15], s[26:27], v[94:95]
	v_add_f64_e32 v[4:5], v[16:17], v[4:5]
	v_add_f64_e32 v[12:13], v[18:19], v[6:7]
	v_mul_f64_e32 v[16:17], s[20:21], v[180:181]
	v_mul_f64_e32 v[18:19], s[20:21], v[170:171]
	v_add_f64_e64 v[14:15], v[14:15], -v[219:220]
	v_add_f64_e32 v[6:7], v[8:9], v[4:5]
	v_add_f64_e32 v[4:5], v[10:11], v[12:13]
	v_mul_f64_e32 v[10:11], s[26:27], v[152:153]
	v_mul_f64_e32 v[8:9], s[12:13], v[166:167]
	;; [unrolled: 1-line block ×3, first 2 shown]
	v_add_f64_e32 v[14:15], v[14:15], v[154:155]
	v_add_f64_e32 v[16:17], v[245:246], v[16:17]
	v_add_f64_e64 v[18:19], v[18:19], -v[239:240]
	v_add_f64_e32 v[10:11], v[231:232], v[10:11]
	v_add_f64_e32 v[8:9], v[247:248], v[8:9]
	v_add_f64_e64 v[12:13], v[12:13], -v[237:238]
	s_delay_alu instid0(VALU_DEP_3) | instskip(NEXT) | instid1(VALU_DEP_1)
	v_add_f64_e32 v[10:11], v[10:11], v[100:101]
	v_add_f64_e32 v[8:9], v[8:9], v[10:11]
	s_delay_alu instid0(VALU_DEP_3) | instskip(SKIP_2) | instid1(VALU_DEP_4)
	v_add_f64_e32 v[10:11], v[12:13], v[14:15]
	v_mul_f64_e32 v[12:13], s[10:11], v[202:203]
	v_mul_f64_e32 v[14:15], s[10:11], v[192:193]
	v_add_f64_e32 v[8:9], v[16:17], v[8:9]
	s_delay_alu instid0(VALU_DEP_4) | instskip(NEXT) | instid1(VALU_DEP_4)
	v_add_f64_e32 v[10:11], v[18:19], v[10:11]
	v_add_f64_e32 v[12:13], v[251:252], v[12:13]
	s_delay_alu instid0(VALU_DEP_4) | instskip(SKIP_3) | instid1(VALU_DEP_2)
	v_add_f64_e64 v[14:15], v[14:15], -v[243:244]
	v_mul_f64_e32 v[18:19], s[38:39], v[160:161]
	v_add_f64_e32 v[8:9], v[30:31], v[8:9]
	v_add_f64_e32 v[16:17], v[32:33], v[10:11]
	v_add_f64_e32 v[10:11], v[12:13], v[8:9]
	s_delay_alu instid0(VALU_DEP_2) | instskip(SKIP_3) | instid1(VALU_DEP_3)
	v_add_f64_e32 v[8:9], v[14:15], v[16:17]
	v_mul_f64_e32 v[16:17], s[20:21], v[152:153]
	v_fma_f64 v[14:15], v[94:95], s[20:21], -v[18:19]
	v_fma_f64 v[18:19], v[94:95], s[20:21], v[18:19]
	v_fma_f64 v[12:13], v[162:163], s[38:39], v[16:17]
	s_delay_alu instid0(VALU_DEP_3) | instskip(SKIP_1) | instid1(VALU_DEP_4)
	v_add_f64_e32 v[14:15], v[14:15], v[253:254]
	v_fma_f64 v[16:17], v[162:163], s[22:23], v[16:17]
	v_add_f64_e32 v[18:19], v[18:19], v[172:173]
	v_mov_b32_e32 v172, v36
	scratch_load_b32 v36, off, off offset:168 ; 4-byte Folded Reload
	v_add_f64_e32 v[12:13], v[12:13], v[28:29]
	v_mul_f64_e32 v[28:29], s[10:11], v[166:167]
	v_add_f64_e32 v[16:17], v[16:17], v[168:169]
	s_delay_alu instid0(VALU_DEP_2) | instskip(SKIP_1) | instid1(VALU_DEP_2)
	v_fma_f64 v[30:31], v[178:179], s[18:19], v[28:29]
	v_fma_f64 v[28:29], v[178:179], s[44:45], v[28:29]
	v_add_f64_e32 v[12:13], v[30:31], v[12:13]
	v_mul_f64_e32 v[30:31], s[18:19], v[164:165]
	s_delay_alu instid0(VALU_DEP_3) | instskip(NEXT) | instid1(VALU_DEP_2)
	v_add_f64_e32 v[16:17], v[28:29], v[16:17]
	v_fma_f64 v[32:33], v[156:157], s[10:11], -v[30:31]
	v_fma_f64 v[28:29], v[156:157], s[10:11], v[30:31]
	v_fma_f64 v[30:31], v[192:193], s[24:25], v[108:109]
	s_delay_alu instid0(VALU_DEP_3) | instskip(SKIP_1) | instid1(VALU_DEP_4)
	v_add_f64_e32 v[14:15], v[32:33], v[14:15]
	v_mul_f64_e32 v[32:33], s[30:31], v[180:181]
	v_add_f64_e32 v[18:19], v[28:29], v[18:19]
	s_delay_alu instid0(VALU_DEP_2) | instskip(SKIP_1) | instid1(VALU_DEP_2)
	v_fma_f64 v[34:35], v[190:191], s[46:47], v[32:33]
	v_fma_f64 v[32:33], v[190:191], s[34:35], v[32:33]
	v_add_f64_e32 v[12:13], v[34:35], v[12:13]
	v_mul_f64_e32 v[34:35], s[46:47], v[188:189]
	s_delay_alu instid0(VALU_DEP_3) | instskip(SKIP_1) | instid1(VALU_DEP_3)
	v_add_f64_e32 v[16:17], v[32:33], v[16:17]
	v_mul_f64_e32 v[32:33], s[20:21], v[166:167]
	v_fma_f64 v[100:101], v[170:171], s[30:31], -v[34:35]
	v_fma_f64 v[28:29], v[170:171], s[30:31], v[34:35]
	v_mul_f64_e32 v[34:35], s[20:21], v[156:157]
	s_delay_alu instid0(VALU_DEP_4) | instskip(SKIP_2) | instid1(VALU_DEP_1)
	v_add_f64_e32 v[32:33], v[49:50], v[32:33]
	s_wait_loadcnt 0x0
	v_mul_u32_u24_e32 v36, 39, v36
	v_add_lshl_u32 v36, v36, v37, 4
	v_add_f64_e32 v[14:15], v[100:101], v[14:15]
	v_mul_f64_e32 v[100:101], s[12:13], v[196:197]
	v_add_f64_e32 v[18:19], v[28:29], v[18:19]
	v_add_f64_e64 v[34:35], v[34:35], -v[47:48]
	s_delay_alu instid0(VALU_DEP_3) | instskip(SKIP_1) | instid1(VALU_DEP_2)
	v_fma_f64 v[102:103], v[206:207], s[36:37], v[100:101]
	v_fma_f64 v[100:101], v[206:207], s[14:15], v[100:101]
	v_add_f64_e32 v[12:13], v[102:103], v[12:13]
	v_mul_f64_e32 v[102:103], s[36:37], v[200:201]
	s_delay_alu instid0(VALU_DEP_3) | instskip(SKIP_1) | instid1(VALU_DEP_3)
	v_add_f64_e32 v[16:17], v[100:101], v[16:17]
	v_mul_f64_e32 v[100:101], s[24:25], v[170:171]
	v_fma_f64 v[106:107], v[184:185], s[12:13], -v[102:103]
	v_fma_f64 v[28:29], v[184:185], s[12:13], v[102:103]
	s_delay_alu instid0(VALU_DEP_3) | instskip(SKIP_1) | instid1(VALU_DEP_4)
	v_add_f64_e64 v[100:101], v[100:101], -v[58:59]
	v_mul_f64_e32 v[102:103], s[26:27], v[196:197]
	v_add_f64_e32 v[106:107], v[106:107], v[14:15]
	v_fma_f64 v[14:15], v[213:214], s[28:29], v[110:111]
	v_add_f64_e32 v[28:29], v[28:29], v[18:19]
	s_delay_alu instid0(VALU_DEP_4) | instskip(NEXT) | instid1(VALU_DEP_3)
	v_add_f64_e32 v[102:103], v[198:199], v[102:103]
	v_add_f64_e32 v[14:15], v[14:15], v[12:13]
	v_fma_f64 v[12:13], v[192:193], s[24:25], -v[108:109]
	s_delay_alu instid0(VALU_DEP_1) | instskip(SKIP_1) | instid1(VALU_DEP_1)
	v_add_f64_e32 v[12:13], v[12:13], v[106:107]
	v_fma_f64 v[106:107], v[213:214], s[40:41], v[110:111]
	v_add_f64_e32 v[18:19], v[106:107], v[16:17]
	v_add_f64_e32 v[16:17], v[30:31], v[28:29]
	v_mul_f64_e32 v[28:29], s[10:11], v[152:153]
	v_mul_f64_e32 v[30:31], s[10:11], v[94:95]
	;; [unrolled: 1-line block ×3, first 2 shown]
	s_delay_alu instid0(VALU_DEP_3) | instskip(NEXT) | instid1(VALU_DEP_3)
	v_add_f64_e32 v[28:29], v[45:46], v[28:29]
	v_add_f64_e64 v[30:31], v[30:31], -v[43:44]
	s_delay_alu instid0(VALU_DEP_3) | instskip(NEXT) | instid1(VALU_DEP_3)
	v_add_f64_e32 v[94:95], v[62:63], v[94:95]
	v_add_f64_e32 v[28:29], v[28:29], v[78:79]
	s_delay_alu instid0(VALU_DEP_3) | instskip(SKIP_1) | instid1(VALU_DEP_3)
	v_add_f64_e32 v[30:31], v[30:31], v[76:77]
	v_mul_f64_e32 v[76:77], s[26:27], v[184:185]
	v_add_f64_e32 v[28:29], v[32:33], v[28:29]
	s_delay_alu instid0(VALU_DEP_3) | instskip(NEXT) | instid1(VALU_DEP_3)
	v_add_f64_e32 v[30:31], v[34:35], v[30:31]
	v_add_f64_e64 v[76:77], v[76:77], -v[68:69]
	v_mul_f64_e32 v[32:33], s[30:31], v[202:203]
	v_mul_f64_e32 v[34:35], s[30:31], v[192:193]
	v_add_f64_e32 v[28:29], v[94:95], v[28:29]
	v_add_f64_e32 v[30:31], v[100:101], v[30:31]
	s_delay_alu instid0(VALU_DEP_4) | instskip(NEXT) | instid1(VALU_DEP_4)
	v_add_f64_e32 v[32:33], v[204:205], v[32:33]
	v_add_f64_e64 v[34:35], v[34:35], -v[194:195]
	s_delay_alu instid0(VALU_DEP_4) | instskip(NEXT) | instid1(VALU_DEP_4)
	v_add_f64_e32 v[28:29], v[102:103], v[28:29]
	v_add_f64_e32 v[76:77], v[76:77], v[30:31]
	s_delay_alu instid0(VALU_DEP_2) | instskip(NEXT) | instid1(VALU_DEP_2)
	v_add_f64_e32 v[30:31], v[32:33], v[28:29]
	v_add_f64_e32 v[28:29], v[34:35], v[76:77]
	;; [unrolled: 1-line block ×4, first 2 shown]
	s_delay_alu instid0(VALU_DEP_2) | instskip(NEXT) | instid1(VALU_DEP_2)
	v_add_f64_e32 v[32:33], v[32:33], v[56:57]
	v_add_f64_e32 v[34:35], v[34:35], v[60:61]
	s_delay_alu instid0(VALU_DEP_2) | instskip(NEXT) | instid1(VALU_DEP_2)
	v_add_f64_e32 v[32:33], v[32:33], v[142:143]
	v_add_f64_e32 v[34:35], v[34:35], v[140:141]
	;; [unrolled: 3-line block ×10, first 2 shown]
	ds_store_b128 v36, v[0:3] offset:96
	ds_store_b128 v36, v[4:7] offset:144
	;; [unrolled: 1-line block ×11, first 2 shown]
	ds_store_b128 v36, v[32:35]
	ds_store_b128 v36, v[132:135] offset:576
.LBB0_11:
	s_wait_alu 0xfffe
	s_or_b32 exec_lo, exec_lo, s1
	global_wb scope:SCOPE_SE
	s_wait_dscnt 0x0
	s_barrier_signal -1
	s_barrier_wait -1
	global_inv scope:SCOPE_SE
	ds_load_b128 v[136:139], v255
	ds_load_b128 v[128:131], v255 offset:1872
	ds_load_b128 v[156:159], v255 offset:13728
	;; [unrolled: 1-line block ×8, first 2 shown]
	s_and_saveexec_b32 s1, vcc_lo
	s_cbranch_execz .LBB0_13
; %bb.12:
	ds_load_b128 v[116:119], v255 offset:5616
	ds_load_b128 v[124:127], v255 offset:12480
	;; [unrolled: 1-line block ×3, first 2 shown]
.LBB0_13:
	s_wait_alu 0xfffe
	s_or_b32 exec_lo, exec_lo, s1
	v_mul_lo_u16 v0, 0xa5, v38
	v_and_b32_e32 v1, 0xff, v210
	v_and_b32_e32 v2, 0xffff, v105
	;; [unrolled: 1-line block ×3, first 2 shown]
	s_mov_b32 s10, 0xe8584caa
	v_lshrrev_b16 v0, 8, v0
	v_mul_lo_u16 v1, 0xa5, v1
	v_mul_u32_u24_e32 v2, 0xa41b, v2
	v_mul_u32_u24_e32 v3, 0xa41b, v3
	s_mov_b32 s11, 0x3febb67a
	v_sub_nc_u16 v4, v172, v0
	v_lshrrev_b16 v1, 8, v1
	v_lshrrev_b32_e32 v2, 16, v2
	v_lshrrev_b32_e32 v3, 16, v3
	s_mov_b32 s13, 0xbfebb67a
	v_lshrrev_b16 v4, 1, v4
	v_sub_nc_u16 v5, v210, v1
	v_sub_nc_u16 v6, v105, v2
	;; [unrolled: 1-line block ×3, first 2 shown]
	s_wait_alu 0xfffe
	s_mov_b32 s12, s10
	v_and_b32_e32 v4, 0x7f, v4
	v_lshrrev_b16 v5, 1, v5
	v_lshrrev_b16 v6, 1, v6
	s_delay_alu instid0(VALU_DEP_3) | instskip(NEXT) | instid1(VALU_DEP_3)
	v_add_nc_u16 v0, v4, v0
	v_and_b32_e32 v4, 0x7f, v5
	s_delay_alu instid0(VALU_DEP_3) | instskip(SKIP_1) | instid1(VALU_DEP_4)
	v_add_nc_u16 v2, v6, v2
	v_lshrrev_b16 v5, 1, v7
	v_lshrrev_b16 v0, 5, v0
	s_delay_alu instid0(VALU_DEP_4) | instskip(NEXT) | instid1(VALU_DEP_4)
	v_add_nc_u16 v1, v4, v1
	v_lshrrev_b16 v36, 5, v2
	s_delay_alu instid0(VALU_DEP_4) | instskip(NEXT) | instid1(VALU_DEP_4)
	v_add_nc_u16 v2, v5, v3
	v_and_b32_e32 v37, 7, v0
	s_delay_alu instid0(VALU_DEP_4) | instskip(NEXT) | instid1(VALU_DEP_4)
	v_lshrrev_b16 v0, 5, v1
	v_mul_lo_u16 v1, v36, 39
	s_delay_alu instid0(VALU_DEP_4) | instskip(NEXT) | instid1(VALU_DEP_4)
	v_lshrrev_b16 v38, 5, v2
	v_mul_lo_u16 v2, v37, 39
	s_delay_alu instid0(VALU_DEP_4) | instskip(NEXT) | instid1(VALU_DEP_4)
	v_and_b32_e32 v39, 7, v0
	v_sub_nc_u16 v40, v105, v1
	s_delay_alu instid0(VALU_DEP_4)
	v_mul_lo_u16 v0, v38, 39
	v_and_b32_e32 v37, 0xffff, v37
	v_sub_nc_u16 v1, v172, v2
	v_mul_lo_u16 v2, v39, 39
	v_lshlrev_b16 v3, 5, v40
	v_sub_nc_u16 v41, v104, v0
	v_mad_u16 v36, 0x75, v36, v40
	v_and_b32_e32 v42, 0xff, v1
	v_sub_nc_u16 v0, v210, v2
	v_and_b32_e32 v1, 0xffff, v3
	v_lshlrev_b16 v2, 5, v41
	v_and_b32_e32 v39, 0xffff, v39
	v_lshlrev_b32_e32 v3, 5, v42
	v_and_b32_e32 v43, 0xff, v0
	v_add_co_u32 v0, s1, s2, v1
	s_wait_alu 0xf1ff
	v_add_co_ci_u32_e64 v1, null, s3, 0, s1
	v_and_b32_e32 v2, 0xffff, v2
	s_clause 0x1
	global_load_b128 v[100:103], v3, s[2:3] offset:592
	global_load_b128 v[104:107], v3, s[2:3] offset:576
	v_lshlrev_b32_e32 v3, 5, v43
	s_clause 0x1
	global_load_b128 v[92:95], v[0:1], off offset:592
	global_load_b128 v[96:99], v[0:1], off offset:576
	v_mul_u32_u24_e32 v37, 0x75, v37
	v_add_co_u32 v0, s1, s2, v2
	s_wait_alu 0xf1ff
	v_add_co_ci_u32_e64 v1, null, s3, 0, s1
	s_clause 0x3
	global_load_b128 v[112:115], v3, s[2:3] offset:576
	global_load_b128 v[108:111], v3, s[2:3] offset:592
	global_load_b128 v[48:51], v[0:1], off offset:576
	global_load_b128 v[44:47], v[0:1], off offset:592
	v_and_b32_e32 v36, 0xffff, v36
	v_mul_u32_u24_e32 v39, 0x75, v39
	v_mad_u16 v38, 0x75, v38, v41
	s_delay_alu instid0(VALU_DEP_3)
	v_lshlrev_b32_e32 v36, 4, v36
	scratch_store_b32 off, v38, off offset:372 ; 4-byte Folded Spill
	v_add_lshl_u32 v38, v37, v42, 4
	v_add_lshl_u32 v37, v39, v43, 4
	s_wait_loadcnt_dscnt 0x706
	v_mul_f64_e32 v[4:5], v[158:159], v[102:103]
	s_wait_loadcnt_dscnt 0x604
	v_mul_f64_e32 v[0:1], v[166:167], v[106:107]
	v_mul_f64_e32 v[2:3], v[164:165], v[106:107]
	;; [unrolled: 1-line block ×3, first 2 shown]
	s_wait_loadcnt_dscnt 0x401
	v_mul_f64_e32 v[8:9], v[162:163], v[98:99]
	v_mul_f64_e32 v[10:11], v[160:161], v[98:99]
	s_wait_dscnt 0x0
	v_mul_f64_e32 v[12:13], v[154:155], v[94:95]
	s_wait_loadcnt 0x3
	v_mul_f64_e32 v[14:15], v[150:151], v[114:115]
	s_wait_loadcnt 0x2
	v_mul_f64_e32 v[16:17], v[146:147], v[110:111]
	v_mul_f64_e32 v[18:19], v[148:149], v[114:115]
	;; [unrolled: 1-line block ×4, first 2 shown]
	s_wait_loadcnt 0x1
	v_mul_f64_e32 v[24:25], v[126:127], v[50:51]
	v_mul_f64_e32 v[26:27], v[124:125], v[50:51]
	s_wait_loadcnt 0x0
	v_mul_f64_e32 v[28:29], v[122:123], v[46:47]
	v_mul_f64_e32 v[30:31], v[120:121], v[46:47]
	s_clause 0x1
	scratch_store_b128 off, v[44:47], off offset:396
	scratch_store_b128 off, v[48:51], off offset:412
	global_wb scope:SCOPE_SE
	s_wait_storecnt 0x0
	s_barrier_signal -1
	s_barrier_wait -1
	global_inv scope:SCOPE_SE
	v_fma_f64 v[156:157], v[156:157], v[100:101], -v[4:5]
	v_fma_f64 v[32:33], v[164:165], v[104:105], -v[0:1]
	v_fma_f64 v[34:35], v[166:167], v[104:105], v[2:3]
	v_fma_f64 v[158:159], v[158:159], v[100:101], v[6:7]
	v_fma_f64 v[8:9], v[160:161], v[96:97], -v[8:9]
	v_fma_f64 v[10:11], v[162:163], v[96:97], v[10:11]
	v_fma_f64 v[152:153], v[152:153], v[92:93], -v[12:13]
	v_fma_f64 v[12:13], v[148:149], v[112:113], -v[14:15]
	;; [unrolled: 1-line block ×3, first 2 shown]
	v_fma_f64 v[14:15], v[150:151], v[112:113], v[18:19]
	v_fma_f64 v[146:147], v[146:147], v[108:109], v[20:21]
	;; [unrolled: 1-line block ×3, first 2 shown]
	v_fma_f64 v[2:3], v[124:125], v[48:49], -v[24:25]
	v_fma_f64 v[6:7], v[126:127], v[48:49], v[26:27]
	v_fma_f64 v[0:1], v[120:121], v[44:45], -v[28:29]
	v_fma_f64 v[4:5], v[122:123], v[44:45], v[30:31]
	v_add_f64_e32 v[16:17], v[32:33], v[156:157]
	v_add_f64_e32 v[122:123], v[136:137], v[32:33]
	v_add_f64_e32 v[18:19], v[34:35], v[158:159]
	v_add_f64_e64 v[124:125], v[34:35], -v[158:159]
	v_add_f64_e32 v[34:35], v[138:139], v[34:35]
	v_add_f64_e32 v[20:21], v[8:9], v[152:153]
	v_add_f64_e64 v[126:127], v[32:33], -v[156:157]
	v_add_f64_e32 v[24:25], v[12:13], v[144:145]
	v_add_f64_e32 v[32:33], v[140:141], v[8:9]
	;; [unrolled: 1-line block ×9, first 2 shown]
	v_add_f64_e64 v[160:161], v[10:11], -v[22:23]
	v_add_f64_e64 v[162:163], v[8:9], -v[152:153]
	;; [unrolled: 1-line block ×6, first 2 shown]
	v_fma_f64 v[136:137], v[16:17], -0.5, v[136:137]
	v_add_f64_e32 v[16:17], v[122:123], v[156:157]
	v_fma_f64 v[138:139], v[18:19], -0.5, v[138:139]
	v_add_f64_e32 v[18:19], v[34:35], v[158:159]
	v_fma_f64 v[140:141], v[20:21], -0.5, v[140:141]
	v_fma_f64 v[166:167], v[24:25], -0.5, v[128:129]
	v_add_f64_e32 v[20:21], v[32:33], v[152:153]
	v_fma_f64 v[170:171], v[26:27], -0.5, v[130:131]
	v_fma_f64 v[142:143], v[28:29], -0.5, v[142:143]
	v_add_f64_e32 v[22:23], v[148:149], v[22:23]
	v_add_f64_e32 v[24:25], v[150:151], v[144:145]
	v_fma_f64 v[8:9], v[30:31], -0.5, v[116:117]
	v_fma_f64 v[12:13], v[120:121], -0.5, v[118:119]
	v_add_f64_e32 v[26:27], v[154:155], v[146:147]
	v_fma_f64 v[28:29], v[124:125], s[10:11], v[136:137]
	s_wait_alu 0xfffe
	v_fma_f64 v[32:33], v[124:125], s[12:13], v[136:137]
	v_fma_f64 v[30:31], v[126:127], s[12:13], v[138:139]
	;; [unrolled: 1-line block ×3, first 2 shown]
	ds_store_b128 v38, v[16:19]
	ds_store_b128 v38, v[28:31] offset:624
	v_fma_f64 v[120:121], v[160:161], s[10:11], v[140:141]
	v_fma_f64 v[124:125], v[160:161], s[12:13], v[140:141]
	;; [unrolled: 1-line block ×10, first 2 shown]
	scratch_store_b32 off, v38, off offset:384 ; 4-byte Folded Spill
	ds_store_b128 v38, v[32:35] offset:1248
	ds_store_b128 v37, v[24:27]
	ds_store_b128 v37, v[128:131] offset:624
	scratch_store_b32 off, v37, off offset:380 ; 4-byte Folded Spill
	ds_store_b128 v37, v[136:139] offset:1248
	ds_store_b128 v36, v[20:23]
	ds_store_b128 v36, v[120:123] offset:624
	scratch_store_b32 off, v36, off offset:376 ; 4-byte Folded Spill
	ds_store_b128 v36, v[124:127] offset:1248
	s_and_saveexec_b32 s1, vcc_lo
	s_cbranch_execz .LBB0_15
; %bb.14:
	v_add_f64_e32 v[6:7], v[118:119], v[6:7]
	v_add_f64_e32 v[16:17], v[116:117], v[2:3]
	v_mul_f64_e32 v[10:11], s[10:11], v[10:11]
	v_mul_f64_e32 v[14:15], s[10:11], v[14:15]
	s_delay_alu instid0(VALU_DEP_4) | instskip(NEXT) | instid1(VALU_DEP_4)
	v_add_f64_e32 v[6:7], v[6:7], v[4:5]
	v_add_f64_e32 v[4:5], v[16:17], v[0:1]
	s_delay_alu instid0(VALU_DEP_4) | instskip(SKIP_4) | instid1(VALU_DEP_1)
	v_add_f64_e32 v[0:1], v[10:11], v[8:9]
	scratch_load_b32 v8, off, off offset:372 ; 4-byte Folded Reload
	v_add_f64_e64 v[2:3], v[12:13], -v[14:15]
	s_wait_loadcnt 0x0
	v_and_b32_e32 v8, 0xffff, v8
	v_lshlrev_b32_e32 v8, 4, v8
	ds_store_b128 v8, v[4:7]
	ds_store_b128 v8, v[0:3] offset:624
	ds_store_b128 v8, v[160:163] offset:1248
.LBB0_15:
	s_wait_alu 0xfffe
	s_or_b32 exec_lo, exec_lo, s1
	v_mad_co_u64_u32 v[0:1], null, 0xa0, v172, s[2:3]
	scratch_store_b32 off, v172, off offset:16 ; 4-byte Folded Spill
	global_wb scope:SCOPE_SE
	s_wait_storecnt_dscnt 0x0
	s_barrier_signal -1
	s_barrier_wait -1
	global_inv scope:SCOPE_SE
	s_mov_b32 s28, 0xf8bb580b
	s_clause 0x3
	global_load_b128 v[120:123], v[0:1], off offset:1824
	global_load_b128 v[116:119], v[0:1], off offset:1968
	;; [unrolled: 1-line block ×4, first 2 shown]
	ds_load_b128 v[140:143], v255 offset:1872
	ds_load_b128 v[136:139], v255 offset:18720
	ds_load_b128 v[2:5], v255
	s_mov_b32 s22, 0x43842ef
	s_mov_b32 s20, 0xbb3a28a1
	;; [unrolled: 1-line block ×20, first 2 shown]
	s_wait_alu 0xfffe
	s_mov_b32 s30, s18
	s_mov_b32 s35, 0x3fefac9e
	;; [unrolled: 1-line block ×5, first 2 shown]
	s_wait_loadcnt_dscnt 0x302
	v_mul_f64_e32 v[6:7], v[142:143], v[122:123]
	v_mul_f64_e32 v[8:9], v[140:141], v[122:123]
	s_wait_loadcnt_dscnt 0x201
	v_mul_f64_e32 v[10:11], v[136:137], v[118:119]
	v_mul_f64_e32 v[12:13], v[138:139], v[118:119]
	s_delay_alu instid0(VALU_DEP_4) | instskip(NEXT) | instid1(VALU_DEP_4)
	v_fma_f64 v[18:19], v[140:141], v[120:121], -v[6:7]
	v_fma_f64 v[20:21], v[142:143], v[120:121], v[8:9]
	ds_load_b128 v[6:9], v255 offset:3744
	v_fma_f64 v[34:35], v[138:139], v[116:117], v[10:11]
	v_fma_f64 v[32:33], v[136:137], v[116:117], -v[12:13]
	ds_load_b128 v[10:13], v255 offset:5616
	s_wait_loadcnt_dscnt 0x101
	v_mul_f64_e32 v[14:15], v[8:9], v[126:127]
	v_add_f64_e32 v[214:215], v[4:5], v[20:21]
	v_add_f64_e32 v[202:203], v[20:21], v[34:35]
	s_delay_alu instid0(VALU_DEP_3) | instskip(SKIP_1) | instid1(VALU_DEP_1)
	v_fma_f64 v[164:165], v[6:7], v[124:125], -v[14:15]
	v_mul_f64_e32 v[6:7], v[6:7], v[126:127]
	v_fma_f64 v[166:167], v[8:9], v[124:125], v[6:7]
	ds_load_b128 v[6:9], v255 offset:16848
	ds_load_b128 v[14:17], v255 offset:14976
	s_clause 0x3
	global_load_b128 v[140:143], v[0:1], off offset:1856
	global_load_b128 v[136:139], v[0:1], off offset:1872
	;; [unrolled: 1-line block ×4, first 2 shown]
	s_wait_loadcnt_dscnt 0x401
	v_mul_f64_e32 v[22:23], v[6:7], v[130:131]
	s_delay_alu instid0(VALU_DEP_1) | instskip(SKIP_1) | instid1(VALU_DEP_2)
	v_fma_f64 v[172:173], v[8:9], v[128:129], v[22:23]
	v_mul_f64_e32 v[8:9], v[8:9], v[130:131]
	v_add_f64_e32 v[222:223], v[166:167], v[172:173]
	s_delay_alu instid0(VALU_DEP_2) | instskip(NEXT) | instid1(VALU_DEP_1)
	v_fma_f64 v[174:175], v[6:7], v[128:129], -v[8:9]
	v_add_f64_e64 v[220:221], v[164:165], -v[174:175]
	s_delay_alu instid0(VALU_DEP_1)
	v_mul_f64_e32 v[224:225], s[20:21], v[220:221]
	v_mul_f64_e32 v[42:43], s[26:27], v[220:221]
	s_wait_alu 0xfffe
	v_mul_f64_e32 v[38:39], s[30:31], v[220:221]
	v_mul_f64_e32 v[58:59], s[34:35], v[220:221]
	s_wait_loadcnt 0x3
	v_mul_f64_e32 v[6:7], v[12:13], v[142:143]
	s_delay_alu instid0(VALU_DEP_1) | instskip(SKIP_1) | instid1(VALU_DEP_1)
	v_fma_f64 v[176:177], v[10:11], v[140:141], -v[6:7]
	v_mul_f64_e32 v[6:7], v[10:11], v[142:143]
	v_fma_f64 v[178:179], v[12:13], v[140:141], v[6:7]
	s_wait_loadcnt_dscnt 0x100
	v_mul_f64_e32 v[6:7], v[14:15], v[150:151]
	s_delay_alu instid0(VALU_DEP_1) | instskip(SKIP_1) | instid1(VALU_DEP_2)
	v_fma_f64 v[180:181], v[16:17], v[148:149], v[6:7]
	v_mul_f64_e32 v[6:7], v[16:17], v[150:151]
	v_add_f64_e64 v[226:227], v[178:179], -v[180:181]
	s_delay_alu instid0(VALU_DEP_2)
	v_fma_f64 v[182:183], v[14:15], v[148:149], -v[6:7]
	ds_load_b128 v[6:9], v255 offset:7488
	ds_load_b128 v[10:13], v255 offset:9360
	v_add_f64_e32 v[234:235], v[178:179], v[180:181]
	s_wait_dscnt 0x1
	v_mul_f64_e32 v[14:15], v[8:9], v[138:139]
	v_mul_f64_e32 v[230:231], s[30:31], v[226:227]
	v_add_f64_e32 v[228:229], v[176:177], v[182:183]
	v_add_f64_e64 v[232:233], v[176:177], -v[182:183]
	s_delay_alu instid0(VALU_DEP_4) | instskip(SKIP_1) | instid1(VALU_DEP_3)
	v_fma_f64 v[184:185], v[6:7], v[136:137], -v[14:15]
	v_mul_f64_e32 v[6:7], v[6:7], v[138:139]
	v_mul_f64_e32 v[236:237], s[30:31], v[232:233]
	;; [unrolled: 1-line block ×3, first 2 shown]
	s_delay_alu instid0(VALU_DEP_3)
	v_fma_f64 v[186:187], v[8:9], v[136:137], v[6:7]
	ds_load_b128 v[6:9], v255 offset:13104
	ds_load_b128 v[14:17], v255 offset:11232
	s_clause 0x1
	global_load_b128 v[156:159], v[0:1], off offset:1888
	global_load_b128 v[152:155], v[0:1], off offset:1904
	s_wait_loadcnt_dscnt 0x201
	v_mul_f64_e32 v[22:23], v[8:9], v[146:147]
	s_delay_alu instid0(VALU_DEP_1) | instskip(SKIP_1) | instid1(VALU_DEP_2)
	v_fma_f64 v[188:189], v[6:7], v[144:145], -v[22:23]
	v_mul_f64_e32 v[6:7], v[6:7], v[146:147]
	v_add_f64_e32 v[240:241], v[184:185], v[188:189]
	s_delay_alu instid0(VALU_DEP_2) | instskip(SKIP_1) | instid1(VALU_DEP_2)
	v_fma_f64 v[190:191], v[8:9], v[144:145], v[6:7]
	v_add_f64_e64 v[244:245], v[184:185], -v[188:189]
	v_add_f64_e64 v[238:239], v[186:187], -v[190:191]
	v_add_f64_e32 v[246:247], v[186:187], v[190:191]
	s_delay_alu instid0(VALU_DEP_3)
	v_mul_f64_e32 v[248:249], s[34:35], v[244:245]
	v_mul_f64_e32 v[50:51], s[28:29], v[244:245]
	;; [unrolled: 1-line block ×6, first 2 shown]
	s_wait_loadcnt 0x1
	v_mul_f64_e32 v[0:1], v[12:13], v[158:159]
	s_delay_alu instid0(VALU_DEP_1) | instskip(SKIP_1) | instid1(VALU_DEP_1)
	v_fma_f64 v[192:193], v[10:11], v[156:157], -v[0:1]
	v_mul_f64_e32 v[0:1], v[10:11], v[158:159]
	v_fma_f64 v[194:195], v[12:13], v[156:157], v[0:1]
	s_wait_loadcnt_dscnt 0x0
	v_mul_f64_e32 v[0:1], v[16:17], v[154:155]
	s_delay_alu instid0(VALU_DEP_1) | instskip(SKIP_2) | instid1(VALU_DEP_3)
	v_fma_f64 v[196:197], v[14:15], v[152:153], -v[0:1]
	v_mul_f64_e32 v[0:1], v[14:15], v[154:155]
	v_add_f64_e32 v[14:15], v[18:19], v[32:33]
	v_add_f64_e32 v[252:253], v[192:193], v[196:197]
	s_delay_alu instid0(VALU_DEP_3) | instskip(SKIP_2) | instid1(VALU_DEP_3)
	v_fma_f64 v[198:199], v[16:17], v[152:153], v[0:1]
	v_add_f64_e64 v[0:1], v[20:21], -v[34:35]
	v_add_f64_e64 v[78:79], v[192:193], -v[196:197]
	;; [unrolled: 1-line block ×3, first 2 shown]
	s_delay_alu instid0(VALU_DEP_3)
	v_mul_f64_e32 v[6:7], s[28:29], v[0:1]
	v_mul_f64_e32 v[8:9], s[26:27], v[0:1]
	;; [unrolled: 1-line block ×5, first 2 shown]
	v_add_f64_e32 v[80:81], v[194:195], v[198:199]
	v_mul_f64_e32 v[82:83], s[36:37], v[78:79]
	v_mul_f64_e32 v[54:55], s[20:21], v[78:79]
	;; [unrolled: 1-line block ×3, first 2 shown]
	v_fma_f64 v[16:17], v[14:15], s[24:25], -v[6:7]
	v_fma_f64 v[6:7], v[14:15], s[24:25], v[6:7]
	v_fma_f64 v[22:23], v[14:15], s[12:13], -v[8:9]
	v_fma_f64 v[8:9], v[14:15], s[12:13], v[8:9]
	v_fma_f64 v[24:25], v[14:15], s[14:15], -v[10:11]
	v_fma_f64 v[10:11], v[14:15], s[14:15], v[10:11]
	v_fma_f64 v[26:27], v[14:15], s[10:11], -v[12:13]
	v_fma_f64 v[12:13], v[14:15], s[10:11], v[12:13]
	v_fma_f64 v[28:29], v[14:15], s[2:3], -v[0:1]
	v_fma_f64 v[0:1], v[14:15], s[2:3], v[0:1]
	v_add_f64_e64 v[14:15], v[18:19], -v[32:33]
	v_mul_f64_e32 v[52:53], s[20:21], v[250:251]
	v_add_f64_e32 v[216:217], v[2:3], v[16:17]
	v_add_f64_e32 v[218:219], v[2:3], v[6:7]
	v_add_f64_e32 v[6:7], v[2:3], v[22:23]
	v_add_f64_e32 v[22:23], v[2:3], v[12:13]
	v_add_f64_e32 v[12:13], v[2:3], v[28:29]
	v_add_f64_e32 v[28:29], v[2:3], v[0:1]
	v_mul_f64_e32 v[30:31], s[28:29], v[14:15]
	v_mul_f64_e32 v[168:169], s[26:27], v[14:15]
	;; [unrolled: 1-line block ×5, first 2 shown]
	v_fma_f64 v[212:213], v[202:203], s[24:25], -v[30:31]
	v_fma_f64 v[204:205], v[202:203], s[12:13], v[168:169]
	v_fma_f64 v[206:207], v[202:203], s[14:15], v[170:171]
	v_fma_f64 v[168:169], v[202:203], s[12:13], -v[168:169]
	v_fma_f64 v[210:211], v[202:203], s[2:3], v[14:15]
	v_fma_f64 v[14:15], v[202:203], s[2:3], -v[14:15]
	v_fma_f64 v[170:171], v[202:203], s[14:15], -v[170:171]
	v_fma_f64 v[208:209], v[202:203], s[10:11], v[200:201]
	v_fma_f64 v[200:201], v[202:203], s[10:11], -v[200:201]
	v_fma_f64 v[30:31], v[202:203], s[24:25], v[30:31]
	v_add_f64_e32 v[202:203], v[2:3], v[18:19]
	v_add_f64_e32 v[212:213], v[4:5], v[212:213]
	v_add_f64_e32 v[16:17], v[4:5], v[204:205]
	v_add_f64_e32 v[18:19], v[4:5], v[206:207]
	v_add_f64_e32 v[204:205], v[2:3], v[8:9]
	v_add_f64_e32 v[8:9], v[2:3], v[24:25]
	v_add_f64_e32 v[206:207], v[4:5], v[14:15]
	v_add_f64_e64 v[14:15], v[166:167], -v[172:173]
	v_add_f64_e32 v[24:25], v[2:3], v[10:11]
	v_add_f64_e32 v[10:11], v[2:3], v[26:27]
	v_add_f64_e32 v[20:21], v[4:5], v[208:209]
	v_add_f64_e32 v[26:27], v[4:5], v[210:211]
	v_add_f64_e32 v[208:209], v[164:165], v[174:175]
	v_add_f64_e32 v[200:201], v[4:5], v[200:201]
	v_add_f64_e32 v[170:171], v[4:5], v[170:171]
	v_add_f64_e32 v[168:169], v[4:5], v[168:169]
	v_add_f64_e32 v[30:31], v[4:5], v[30:31]
	v_fma_f64 v[2:3], v[222:223], s[10:11], v[224:225]
	v_fma_f64 v[4:5], v[228:229], s[2:3], -v[230:231]
	v_mul_f64_e32 v[210:211], s[20:21], v[14:15]
	v_mul_f64_e32 v[36:37], s[30:31], v[14:15]
	;; [unrolled: 1-line block ×3, first 2 shown]
	s_mov_b32 s27, 0x3fed1bb4
	v_mul_f64_e32 v[56:57], s[34:35], v[14:15]
	s_wait_alu 0xfffe
	v_mul_f64_e32 v[44:45], s[26:27], v[226:227]
	v_mul_f64_e32 v[46:47], s[26:27], v[232:233]
	;; [unrolled: 1-line block ×4, first 2 shown]
	v_add_f64_e32 v[2:3], v[2:3], v[16:17]
	v_fma_f64 v[0:1], v[208:209], s[10:11], -v[210:211]
	s_delay_alu instid0(VALU_DEP_1) | instskip(SKIP_1) | instid1(VALU_DEP_2)
	v_add_f64_e32 v[0:1], v[0:1], v[6:7]
	v_fma_f64 v[6:7], v[222:223], s[2:3], v[38:39]
	v_add_f64_e32 v[0:1], v[4:5], v[0:1]
	v_fma_f64 v[4:5], v[234:235], s[2:3], v[236:237]
	s_delay_alu instid0(VALU_DEP_3) | instskip(SKIP_1) | instid1(VALU_DEP_3)
	v_add_f64_e32 v[6:7], v[6:7], v[18:19]
	v_mul_f64_e32 v[18:19], s[36:37], v[220:221]
	v_add_f64_e32 v[2:3], v[4:5], v[2:3]
	v_fma_f64 v[4:5], v[240:241], s[14:15], -v[242:243]
	s_delay_alu instid0(VALU_DEP_1) | instskip(SKIP_1) | instid1(VALU_DEP_1)
	v_add_f64_e32 v[0:1], v[4:5], v[0:1]
	v_fma_f64 v[4:5], v[246:247], s[14:15], v[248:249]
	v_add_f64_e32 v[2:3], v[4:5], v[2:3]
	v_fma_f64 v[4:5], v[252:253], s[24:25], -v[76:77]
	s_delay_alu instid0(VALU_DEP_1) | instskip(SKIP_1) | instid1(VALU_DEP_1)
	v_add_f64_e32 v[0:1], v[4:5], v[0:1]
	v_fma_f64 v[4:5], v[80:81], s[24:25], v[82:83]
	v_add_f64_e32 v[2:3], v[4:5], v[2:3]
	v_fma_f64 v[4:5], v[208:209], s[2:3], -v[36:37]
	s_delay_alu instid0(VALU_DEP_1) | instskip(SKIP_1) | instid1(VALU_DEP_1)
	v_add_f64_e32 v[4:5], v[4:5], v[8:9]
	v_fma_f64 v[8:9], v[228:229], s[12:13], -v[44:45]
	v_add_f64_e32 v[4:5], v[8:9], v[4:5]
	v_fma_f64 v[8:9], v[234:235], s[12:13], v[46:47]
	s_delay_alu instid0(VALU_DEP_1) | instskip(SKIP_1) | instid1(VALU_DEP_1)
	v_add_f64_e32 v[6:7], v[8:9], v[6:7]
	v_fma_f64 v[8:9], v[240:241], s[24:25], -v[48:49]
	v_add_f64_e32 v[4:5], v[8:9], v[4:5]
	v_fma_f64 v[8:9], v[246:247], s[24:25], v[50:51]
	;; [unrolled: 5-line block ×4, first 2 shown]
	s_delay_alu instid0(VALU_DEP_1) | instskip(SKIP_1) | instid1(VALU_DEP_1)
	v_add_f64_e32 v[10:11], v[10:11], v[20:21]
	v_mul_f64_e32 v[20:21], s[28:29], v[226:227]
	v_fma_f64 v[16:17], v[228:229], s[24:25], -v[20:21]
	v_fma_f64 v[20:21], v[228:229], s[24:25], v[20:21]
	s_delay_alu instid0(VALU_DEP_2) | instskip(SKIP_1) | instid1(VALU_DEP_1)
	v_add_f64_e32 v[8:9], v[16:17], v[8:9]
	v_fma_f64 v[16:17], v[234:235], s[24:25], v[60:61]
	v_add_f64_e32 v[10:11], v[16:17], v[10:11]
	v_fma_f64 v[16:17], v[240:241], s[2:3], -v[62:63]
	s_delay_alu instid0(VALU_DEP_1) | instskip(SKIP_1) | instid1(VALU_DEP_1)
	v_add_f64_e32 v[8:9], v[16:17], v[8:9]
	v_fma_f64 v[16:17], v[246:247], s[2:3], v[64:65]
	v_add_f64_e32 v[10:11], v[16:17], v[10:11]
	v_fma_f64 v[16:17], v[252:253], s[12:13], -v[66:67]
	s_delay_alu instid0(VALU_DEP_1) | instskip(SKIP_1) | instid1(VALU_DEP_1)
	v_add_f64_e32 v[8:9], v[16:17], v[8:9]
	v_fma_f64 v[16:17], v[80:81], s[12:13], v[68:69]
	v_add_f64_e32 v[10:11], v[16:17], v[10:11]
	v_mul_f64_e32 v[16:17], s[36:37], v[14:15]
	s_delay_alu instid0(VALU_DEP_1) | instskip(SKIP_1) | instid1(VALU_DEP_2)
	v_fma_f64 v[14:15], v[208:209], s[24:25], -v[16:17]
	v_fma_f64 v[16:17], v[208:209], s[24:25], v[16:17]
	v_add_f64_e32 v[12:13], v[14:15], v[12:13]
	v_fma_f64 v[14:15], v[222:223], s[24:25], v[18:19]
	s_delay_alu instid0(VALU_DEP_3) | instskip(SKIP_1) | instid1(VALU_DEP_3)
	v_add_f64_e32 v[16:17], v[16:17], v[28:29]
	v_fma_f64 v[18:19], v[222:223], s[24:25], -v[18:19]
	v_add_f64_e32 v[14:15], v[14:15], v[26:27]
	v_mul_f64_e32 v[26:27], s[20:21], v[226:227]
	s_delay_alu instid0(VALU_DEP_3) | instskip(NEXT) | instid1(VALU_DEP_2)
	v_add_f64_e32 v[18:19], v[18:19], v[206:207]
	v_fma_f64 v[70:71], v[228:229], s[10:11], -v[26:27]
	v_fma_f64 v[26:27], v[228:229], s[10:11], v[26:27]
	s_delay_alu instid0(VALU_DEP_2) | instskip(SKIP_1) | instid1(VALU_DEP_3)
	v_add_f64_e32 v[12:13], v[70:71], v[12:13]
	v_mul_f64_e32 v[70:71], s[20:21], v[232:233]
	v_add_f64_e32 v[16:17], v[26:27], v[16:17]
	s_delay_alu instid0(VALU_DEP_2) | instskip(SKIP_1) | instid1(VALU_DEP_2)
	v_fma_f64 v[220:221], v[234:235], s[10:11], v[70:71]
	v_fma_f64 v[26:27], v[234:235], s[10:11], -v[70:71]
	v_add_f64_e32 v[14:15], v[220:221], v[14:15]
	v_mul_f64_e32 v[220:221], s[26:27], v[238:239]
	s_delay_alu instid0(VALU_DEP_3) | instskip(NEXT) | instid1(VALU_DEP_2)
	v_add_f64_e32 v[18:19], v[26:27], v[18:19]
	v_fma_f64 v[72:73], v[240:241], s[12:13], -v[220:221]
	v_fma_f64 v[26:27], v[240:241], s[12:13], v[220:221]
	s_delay_alu instid0(VALU_DEP_2) | instskip(SKIP_1) | instid1(VALU_DEP_3)
	v_add_f64_e32 v[12:13], v[72:73], v[12:13]
	v_mul_f64_e32 v[72:73], s[26:27], v[244:245]
	v_add_f64_e32 v[16:17], v[26:27], v[16:17]
	s_delay_alu instid0(VALU_DEP_2) | instskip(SKIP_1) | instid1(VALU_DEP_2)
	v_fma_f64 v[74:75], v[246:247], s[12:13], v[72:73]
	v_fma_f64 v[26:27], v[246:247], s[12:13], -v[72:73]
	v_add_f64_e32 v[14:15], v[74:75], v[14:15]
	v_mul_f64_e32 v[74:75], s[22:23], v[250:251]
	s_delay_alu instid0(VALU_DEP_3) | instskip(NEXT) | instid1(VALU_DEP_2)
	v_add_f64_e32 v[18:19], v[26:27], v[18:19]
	v_fma_f64 v[26:27], v[252:253], s[14:15], v[74:75]
	v_fma_f64 v[84:85], v[252:253], s[14:15], -v[74:75]
	s_delay_alu instid0(VALU_DEP_2) | instskip(SKIP_1) | instid1(VALU_DEP_3)
	v_add_f64_e32 v[16:17], v[26:27], v[16:17]
	v_fma_f64 v[26:27], v[208:209], s[14:15], v[56:57]
	v_add_f64_e32 v[12:13], v[84:85], v[12:13]
	v_mul_f64_e32 v[84:85], s[22:23], v[78:79]
	s_delay_alu instid0(VALU_DEP_3) | instskip(SKIP_1) | instid1(VALU_DEP_3)
	v_add_f64_e32 v[22:23], v[26:27], v[22:23]
	v_fma_f64 v[26:27], v[222:223], s[14:15], -v[58:59]
	v_fma_f64 v[28:29], v[80:81], s[14:15], -v[84:85]
	v_fma_f64 v[86:87], v[80:81], s[14:15], v[84:85]
	s_delay_alu instid0(VALU_DEP_4) | instskip(NEXT) | instid1(VALU_DEP_4)
	v_add_f64_e32 v[20:21], v[20:21], v[22:23]
	v_add_f64_e32 v[26:27], v[26:27], v[200:201]
	v_fma_f64 v[22:23], v[234:235], s[24:25], -v[60:61]
	v_add_f64_e32 v[18:19], v[28:29], v[18:19]
	v_fma_f64 v[28:29], v[80:81], s[12:13], -v[68:69]
	v_add_f64_e32 v[14:15], v[86:87], v[14:15]
	s_delay_alu instid0(VALU_DEP_4) | instskip(SKIP_1) | instid1(VALU_DEP_1)
	v_add_f64_e32 v[22:23], v[22:23], v[26:27]
	v_fma_f64 v[26:27], v[240:241], s[2:3], v[62:63]
	v_add_f64_e32 v[20:21], v[26:27], v[20:21]
	v_fma_f64 v[26:27], v[246:247], s[2:3], -v[64:65]
	s_delay_alu instid0(VALU_DEP_1) | instskip(SKIP_1) | instid1(VALU_DEP_2)
	v_add_f64_e32 v[22:23], v[26:27], v[22:23]
	v_fma_f64 v[26:27], v[252:253], s[12:13], v[66:67]
	v_add_f64_e32 v[22:23], v[28:29], v[22:23]
	s_delay_alu instid0(VALU_DEP_2)
	v_add_f64_e32 v[20:21], v[26:27], v[20:21]
	v_fma_f64 v[26:27], v[208:209], s[2:3], v[36:37]
	v_fma_f64 v[28:29], v[228:229], s[12:13], v[44:45]
	v_fma_f64 v[36:37], v[80:81], s[10:11], -v[54:55]
	v_fma_f64 v[44:45], v[80:81], s[24:25], -v[82:83]
	v_add_f64_e32 v[54:55], v[214:215], v[166:167]
	v_add_f64_e32 v[24:25], v[26:27], v[24:25]
	v_fma_f64 v[26:27], v[222:223], s[2:3], -v[38:39]
	v_fma_f64 v[38:39], v[228:229], s[2:3], v[230:231]
	s_delay_alu instid0(VALU_DEP_4) | instskip(NEXT) | instid1(VALU_DEP_4)
	v_add_f64_e32 v[54:55], v[54:55], v[178:179]
	v_add_f64_e32 v[24:25], v[28:29], v[24:25]
	s_delay_alu instid0(VALU_DEP_4) | instskip(SKIP_1) | instid1(VALU_DEP_4)
	v_add_f64_e32 v[26:27], v[26:27], v[170:171]
	v_fma_f64 v[28:29], v[234:235], s[12:13], -v[46:47]
	v_add_f64_e32 v[54:55], v[54:55], v[186:187]
	s_delay_alu instid0(VALU_DEP_2) | instskip(SKIP_1) | instid1(VALU_DEP_3)
	v_add_f64_e32 v[26:27], v[28:29], v[26:27]
	v_fma_f64 v[28:29], v[240:241], s[24:25], v[48:49]
	v_add_f64_e32 v[54:55], v[54:55], v[194:195]
	s_delay_alu instid0(VALU_DEP_2) | instskip(SKIP_2) | instid1(VALU_DEP_4)
	v_add_f64_e32 v[24:25], v[28:29], v[24:25]
	v_fma_f64 v[28:29], v[246:247], s[24:25], -v[50:51]
	v_mul_f64_e32 v[50:51], s[18:19], v[78:79]
	v_add_f64_e32 v[54:55], v[54:55], v[198:199]
	s_delay_alu instid0(VALU_DEP_3) | instskip(SKIP_1) | instid1(VALU_DEP_3)
	v_add_f64_e32 v[26:27], v[28:29], v[26:27]
	v_fma_f64 v[28:29], v[252:253], s[10:11], v[52:53]
	v_add_f64_e32 v[54:55], v[54:55], v[190:191]
	s_delay_alu instid0(VALU_DEP_3) | instskip(NEXT) | instid1(VALU_DEP_3)
	v_add_f64_e32 v[26:27], v[36:37], v[26:27]
	v_add_f64_e32 v[24:25], v[28:29], v[24:25]
	v_fma_f64 v[28:29], v[208:209], s[10:11], v[210:211]
	v_fma_f64 v[36:37], v[222:223], s[10:11], -v[224:225]
	v_add_f64_e32 v[54:55], v[54:55], v[180:181]
	s_delay_alu instid0(VALU_DEP_3) | instskip(NEXT) | instid1(VALU_DEP_3)
	v_add_f64_e32 v[28:29], v[28:29], v[204:205]
	v_add_f64_e32 v[36:37], v[36:37], v[168:169]
	s_delay_alu instid0(VALU_DEP_3) | instskip(NEXT) | instid1(VALU_DEP_3)
	v_add_f64_e32 v[54:55], v[54:55], v[172:173]
	v_add_f64_e32 v[28:29], v[38:39], v[28:29]
	v_fma_f64 v[38:39], v[234:235], s[2:3], -v[236:237]
	s_delay_alu instid0(VALU_DEP_3) | instskip(NEXT) | instid1(VALU_DEP_2)
	v_add_f64_e32 v[34:35], v[54:55], v[34:35]
	v_add_f64_e32 v[36:37], v[38:39], v[36:37]
	v_fma_f64 v[38:39], v[240:241], s[14:15], v[242:243]
	s_delay_alu instid0(VALU_DEP_1) | instskip(SKIP_1) | instid1(VALU_DEP_1)
	v_add_f64_e32 v[28:29], v[38:39], v[28:29]
	v_fma_f64 v[38:39], v[246:247], s[14:15], -v[248:249]
	v_add_f64_e32 v[36:37], v[38:39], v[36:37]
	v_fma_f64 v[38:39], v[252:253], s[24:25], v[76:77]
	s_delay_alu instid0(VALU_DEP_2) | instskip(SKIP_1) | instid1(VALU_DEP_3)
	v_add_f64_e32 v[170:171], v[44:45], v[36:37]
	v_fma_f64 v[36:37], v[222:223], s[12:13], v[42:43]
	v_add_f64_e32 v[168:169], v[38:39], v[28:29]
	v_fma_f64 v[28:29], v[208:209], s[12:13], -v[40:41]
	v_fma_f64 v[40:41], v[208:209], s[12:13], v[40:41]
	v_fma_f64 v[42:43], v[222:223], s[12:13], -v[42:43]
	v_add_f64_e32 v[30:31], v[36:37], v[30:31]
	v_mul_f64_e32 v[36:37], s[22:23], v[226:227]
	v_add_f64_e32 v[28:29], v[28:29], v[216:217]
	v_add_f64_e32 v[40:41], v[40:41], v[218:219]
	;; [unrolled: 1-line block ×3, first 2 shown]
	s_delay_alu instid0(VALU_DEP_4) | instskip(SKIP_1) | instid1(VALU_DEP_2)
	v_fma_f64 v[38:39], v[228:229], s[14:15], -v[36:37]
	v_fma_f64 v[36:37], v[228:229], s[14:15], v[36:37]
	v_add_f64_e32 v[28:29], v[38:39], v[28:29]
	v_mul_f64_e32 v[38:39], s[22:23], v[232:233]
	s_delay_alu instid0(VALU_DEP_3) | instskip(NEXT) | instid1(VALU_DEP_2)
	v_add_f64_e32 v[36:37], v[36:37], v[40:41]
	v_fma_f64 v[44:45], v[234:235], s[14:15], v[38:39]
	v_fma_f64 v[38:39], v[234:235], s[14:15], -v[38:39]
	s_delay_alu instid0(VALU_DEP_2) | instskip(SKIP_1) | instid1(VALU_DEP_3)
	v_add_f64_e32 v[30:31], v[44:45], v[30:31]
	v_mul_f64_e32 v[44:45], s[20:21], v[238:239]
	v_add_f64_e32 v[38:39], v[38:39], v[42:43]
	v_fma_f64 v[42:43], v[80:81], s[2:3], -v[50:51]
	s_delay_alu instid0(VALU_DEP_3) | instskip(SKIP_1) | instid1(VALU_DEP_2)
	v_fma_f64 v[46:47], v[240:241], s[10:11], -v[44:45]
	v_fma_f64 v[44:45], v[240:241], s[10:11], v[44:45]
	v_add_f64_e32 v[28:29], v[46:47], v[28:29]
	v_mul_f64_e32 v[46:47], s[20:21], v[244:245]
	s_delay_alu instid0(VALU_DEP_3) | instskip(NEXT) | instid1(VALU_DEP_2)
	v_add_f64_e32 v[36:37], v[44:45], v[36:37]
	v_fma_f64 v[48:49], v[246:247], s[10:11], v[46:47]
	v_fma_f64 v[46:47], v[246:247], s[10:11], -v[46:47]
	s_delay_alu instid0(VALU_DEP_2) | instskip(SKIP_1) | instid1(VALU_DEP_3)
	v_add_f64_e32 v[30:31], v[48:49], v[30:31]
	v_mul_f64_e32 v[48:49], s[18:19], v[250:251]
	v_add_f64_e32 v[38:39], v[46:47], v[38:39]
	s_delay_alu instid0(VALU_DEP_2) | instskip(SKIP_1) | instid1(VALU_DEP_2)
	v_fma_f64 v[52:53], v[252:253], s[2:3], -v[48:49]
	v_fma_f64 v[40:41], v[252:253], s[2:3], v[48:49]
	v_add_f64_e32 v[28:29], v[52:53], v[28:29]
	v_fma_f64 v[52:53], v[80:81], s[2:3], v[50:51]
	s_delay_alu instid0(VALU_DEP_3) | instskip(SKIP_1) | instid1(VALU_DEP_2)
	v_add_f64_e32 v[172:173], v[40:41], v[36:37]
	s_add_nc_u64 s[2:3], s[16:17], 0x5070
	v_add_f64_e32 v[30:31], v[52:53], v[30:31]
	v_add_f64_e32 v[52:53], v[202:203], v[164:165]
	s_delay_alu instid0(VALU_DEP_1) | instskip(NEXT) | instid1(VALU_DEP_1)
	v_add_f64_e32 v[52:53], v[52:53], v[176:177]
	v_add_f64_e32 v[52:53], v[52:53], v[184:185]
	s_delay_alu instid0(VALU_DEP_1) | instskip(NEXT) | instid1(VALU_DEP_1)
	;; [unrolled: 3-line block ×3, first 2 shown]
	v_add_f64_e32 v[52:53], v[52:53], v[188:189]
	v_add_f64_e32 v[52:53], v[52:53], v[182:183]
	s_delay_alu instid0(VALU_DEP_1) | instskip(SKIP_1) | instid1(VALU_DEP_2)
	v_add_f64_e32 v[52:53], v[52:53], v[174:175]
	v_add_f64_e32 v[174:175], v[42:43], v[38:39]
	;; [unrolled: 1-line block ×3, first 2 shown]
	ds_store_b128 v255, v[0:3] offset:3744
	ds_store_b128 v255, v[4:7] offset:5616
	;; [unrolled: 1-line block ×7, first 2 shown]
	ds_store_b128 v255, v[32:35]
	ds_store_b128 v255, v[24:27] offset:14976
	ds_store_b128 v255, v[168:171] offset:16848
	;; [unrolled: 1-line block ×3, first 2 shown]
	global_wb scope:SCOPE_SE
	s_wait_dscnt 0x0
	s_barrier_signal -1
	s_barrier_wait -1
	global_inv scope:SCOPE_SE
	scratch_load_b64 v[0:1], off, off       ; 8-byte Folded Reload
	s_wait_loadcnt 0x0
	global_load_b128 v[0:3], v[0:1], off offset:20592
	ds_load_b128 v[4:7], v255
	ds_load_b128 v[8:11], v255 offset:1872
	s_clause 0x2
	global_load_b128 v[28:31], v255, s[2:3] offset:13728
	global_load_b128 v[164:167], v255, s[2:3] offset:15600
	;; [unrolled: 1-line block ×3, first 2 shown]
	ds_load_b128 v[184:187], v255 offset:17472
	ds_load_b128 v[16:19], v255 offset:6864
	;; [unrolled: 1-line block ×5, first 2 shown]
	global_load_b128 v[20:23], v255, s[2:3] offset:3744
	s_wait_loadcnt_dscnt 0x406
	v_mul_f64_e32 v[12:13], v[6:7], v[2:3]
	v_mul_f64_e32 v[14:15], v[4:5], v[2:3]
	s_delay_alu instid0(VALU_DEP_2) | instskip(NEXT) | instid1(VALU_DEP_2)
	v_fma_f64 v[2:3], v[4:5], v[0:1], -v[12:13]
	v_fma_f64 v[4:5], v[6:7], v[0:1], v[14:15]
	global_load_b128 v[12:15], v255, s[2:3] offset:6864
	s_wait_loadcnt_dscnt 0x3
	v_mul_f64_e32 v[0:1], v[18:19], v[14:15]
	v_mul_f64_e32 v[6:7], v[16:17], v[14:15]
	s_delay_alu instid0(VALU_DEP_2) | instskip(SKIP_2) | instid1(VALU_DEP_3)
	v_fma_f64 v[14:15], v[16:17], v[12:13], -v[0:1]
	s_wait_dscnt 0x1
	v_mul_f64_e32 v[0:1], v[34:35], v[30:31]
	v_fma_f64 v[16:17], v[18:19], v[12:13], v[6:7]
	v_mul_f64_e32 v[6:7], v[32:33], v[30:31]
	v_mul_f64_e32 v[12:13], v[8:9], v[182:183]
	s_delay_alu instid0(VALU_DEP_4) | instskip(SKIP_1) | instid1(VALU_DEP_4)
	v_fma_f64 v[30:31], v[32:33], v[28:29], -v[0:1]
	v_mul_f64_e32 v[0:1], v[10:11], v[182:183]
	v_fma_f64 v[32:33], v[34:35], v[28:29], v[6:7]
	s_delay_alu instid0(VALU_DEP_2)
	v_fma_f64 v[6:7], v[8:9], v[180:181], -v[0:1]
	v_fma_f64 v[8:9], v[10:11], v[180:181], v[12:13]
	s_clause 0x1
	global_load_b128 v[10:13], v255, s[2:3] offset:8736
	global_load_b128 v[180:183], v255, s[2:3] offset:10608
	ds_load_b128 v[188:191], v255 offset:8736
	ds_load_b128 v[192:195], v255 offset:10608
	s_wait_loadcnt_dscnt 0x101
	v_mul_f64_e32 v[0:1], v[190:191], v[12:13]
	v_mul_f64_e32 v[12:13], v[188:189], v[12:13]
	s_delay_alu instid0(VALU_DEP_2) | instskip(SKIP_1) | instid1(VALU_DEP_3)
	v_fma_f64 v[188:189], v[188:189], v[10:11], -v[0:1]
	v_mul_f64_e32 v[0:1], v[178:179], v[166:167]
	v_fma_f64 v[190:191], v[190:191], v[10:11], v[12:13]
	v_mul_f64_e32 v[12:13], v[176:177], v[166:167]
	s_delay_alu instid0(VALU_DEP_3) | instskip(SKIP_2) | instid1(VALU_DEP_4)
	v_fma_f64 v[10:11], v[176:177], v[164:165], -v[0:1]
	v_mul_f64_e32 v[0:1], v[26:27], v[22:23]
	v_mul_f64_e32 v[22:23], v[24:25], v[22:23]
	v_fma_f64 v[12:13], v[178:179], v[164:165], v[12:13]
	s_delay_alu instid0(VALU_DEP_3) | instskip(NEXT) | instid1(VALU_DEP_3)
	v_fma_f64 v[18:19], v[24:25], v[20:21], -v[0:1]
	v_fma_f64 v[20:21], v[26:27], v[20:21], v[22:23]
	global_load_b128 v[26:29], v255, s[2:3] offset:17472
	s_wait_loadcnt_dscnt 0x100
	v_mul_f64_e32 v[0:1], v[194:195], v[182:183]
	v_mul_f64_e32 v[24:25], v[192:193], v[182:183]
	s_delay_alu instid0(VALU_DEP_2) | instskip(NEXT) | instid1(VALU_DEP_2)
	v_fma_f64 v[22:23], v[192:193], v[180:181], -v[0:1]
	v_fma_f64 v[24:25], v[194:195], v[180:181], v[24:25]
	s_wait_loadcnt 0x0
	v_mul_f64_e32 v[0:1], v[186:187], v[28:29]
	v_mul_f64_e32 v[28:29], v[184:185], v[28:29]
	s_delay_alu instid0(VALU_DEP_2) | instskip(NEXT) | instid1(VALU_DEP_2)
	v_fma_f64 v[164:165], v[184:185], v[26:27], -v[0:1]
	v_fma_f64 v[166:167], v[186:187], v[26:27], v[28:29]
	ds_store_b128 v255, v[2:5]
	ds_store_b128 v255, v[6:9] offset:1872
	ds_store_b128 v255, v[30:33] offset:13728
	;; [unrolled: 1-line block ×8, first 2 shown]
	s_and_saveexec_b32 s1, vcc_lo
	s_cbranch_execz .LBB0_17
; %bb.16:
	s_wait_alu 0xfffe
	v_add_co_u32 v8, s2, s2, v255
	s_wait_alu 0xf1ff
	v_add_co_ci_u32_e64 v9, null, s3, 0, s2
	s_clause 0x2
	global_load_b128 v[0:3], v[8:9], off offset:5616
	global_load_b128 v[4:7], v[8:9], off offset:12480
	;; [unrolled: 1-line block ×3, first 2 shown]
	ds_load_b128 v[12:15], v255 offset:5616
	ds_load_b128 v[16:19], v255 offset:12480
	;; [unrolled: 1-line block ×3, first 2 shown]
	s_wait_loadcnt_dscnt 0x202
	v_mul_f64_e32 v[24:25], v[14:15], v[2:3]
	v_mul_f64_e32 v[2:3], v[12:13], v[2:3]
	s_wait_loadcnt_dscnt 0x101
	v_mul_f64_e32 v[26:27], v[18:19], v[6:7]
	v_mul_f64_e32 v[6:7], v[16:17], v[6:7]
	s_wait_loadcnt_dscnt 0x0
	v_mul_f64_e32 v[28:29], v[22:23], v[10:11]
	v_mul_f64_e32 v[30:31], v[20:21], v[10:11]
	v_fma_f64 v[10:11], v[12:13], v[0:1], -v[24:25]
	v_fma_f64 v[12:13], v[14:15], v[0:1], v[2:3]
	v_fma_f64 v[0:1], v[16:17], v[4:5], -v[26:27]
	v_fma_f64 v[2:3], v[18:19], v[4:5], v[6:7]
	;; [unrolled: 2-line block ×3, first 2 shown]
	ds_store_b128 v255, v[10:13] offset:5616
	ds_store_b128 v255, v[0:3] offset:12480
	;; [unrolled: 1-line block ×3, first 2 shown]
.LBB0_17:
	s_wait_alu 0xfffe
	s_or_b32 exec_lo, exec_lo, s1
	global_wb scope:SCOPE_SE
	s_wait_dscnt 0x0
	s_barrier_signal -1
	s_barrier_wait -1
	global_inv scope:SCOPE_SE
	ds_load_b128 v[180:183], v255
	ds_load_b128 v[192:195], v255 offset:1872
	ds_load_b128 v[164:167], v255 offset:13728
	;; [unrolled: 1-line block ×8, first 2 shown]
	s_and_saveexec_b32 s1, vcc_lo
	s_cbranch_execz .LBB0_19
; %bb.18:
	ds_load_b128 v[168:171], v255 offset:5616
	ds_load_b128 v[172:175], v255 offset:12480
	;; [unrolled: 1-line block ×3, first 2 shown]
.LBB0_19:
	s_wait_alu 0xfffe
	s_or_b32 exec_lo, exec_lo, s1
	s_wait_dscnt 0x4
	v_add_f64_e32 v[0:1], v[180:181], v[204:205]
	v_add_f64_e32 v[4:5], v[204:205], v[164:165]
	v_add_f64_e64 v[10:11], v[204:205], -v[164:165]
	s_wait_dscnt 0x2
	v_add_f64_e32 v[12:13], v[200:201], v[188:189]
	v_add_f64_e64 v[18:19], v[200:201], -v[188:189]
	s_wait_dscnt 0x0
	v_add_f64_e32 v[20:21], v[184:185], v[176:177]
	v_add_f64_e64 v[26:27], v[184:185], -v[176:177]
	v_add_f64_e64 v[8:9], v[206:207], -v[166:167]
	s_mov_b32 s2, 0xe8584caa
	s_mov_b32 s3, 0xbfebb67a
	;; [unrolled: 1-line block ×3, first 2 shown]
	s_wait_alu 0xfffe
	s_mov_b32 s10, s2
	global_wb scope:SCOPE_SE
	s_barrier_signal -1
	s_barrier_wait -1
	global_inv scope:SCOPE_SE
	v_add_f64_e32 v[2:3], v[182:183], v[206:207]
	v_add_f64_e32 v[6:7], v[206:207], v[166:167]
	;; [unrolled: 1-line block ×3, first 2 shown]
	v_add_f64_e64 v[16:17], v[202:203], -v[190:191]
	v_add_f64_e32 v[22:23], v[186:187], v[178:179]
	v_add_f64_e64 v[24:25], v[186:187], -v[178:179]
	v_add_f64_e32 v[28:29], v[172:173], v[160:161]
	v_add_f64_e32 v[30:31], v[174:175], v[162:163]
	v_add_f64_e64 v[32:33], v[174:175], -v[162:163]
	v_add_f64_e64 v[34:35], v[172:173], -v[160:161]
	v_add_f64_e32 v[164:165], v[0:1], v[164:165]
	v_add_f64_e32 v[0:1], v[192:193], v[200:201]
	;; [unrolled: 1-line block ×4, first 2 shown]
	s_delay_alu instid0(VALU_DEP_3) | instskip(SKIP_1) | instid1(VALU_DEP_3)
	v_add_f64_e32 v[188:189], v[0:1], v[188:189]
	v_add_f64_e32 v[0:1], v[196:197], v[184:185]
	;; [unrolled: 1-line block ×4, first 2 shown]
	s_delay_alu instid0(VALU_DEP_3) | instskip(SKIP_1) | instid1(VALU_DEP_3)
	v_add_f64_e32 v[176:177], v[0:1], v[176:177]
	v_add_f64_e32 v[0:1], v[168:169], v[172:173]
	;; [unrolled: 1-line block ×4, first 2 shown]
	s_delay_alu instid0(VALU_DEP_3)
	v_add_f64_e32 v[184:185], v[0:1], v[160:161]
	v_fma_f64 v[0:1], v[4:5], -0.5, v[180:181]
	v_fma_f64 v[4:5], v[12:13], -0.5, v[192:193]
	;; [unrolled: 1-line block ×4, first 2 shown]
	v_add_f64_e32 v[186:187], v[2:3], v[162:163]
	v_fma_f64 v[2:3], v[6:7], -0.5, v[182:183]
	v_fma_f64 v[6:7], v[14:15], -0.5, v[194:195]
	;; [unrolled: 1-line block ×4, first 2 shown]
	v_fma_f64 v[196:197], v[8:9], s[2:3], v[0:1]
	s_wait_alu 0xfffe
	v_fma_f64 v[192:193], v[8:9], s[10:11], v[0:1]
	scratch_load_b32 v0, off, off offset:212 th:TH_LOAD_LU ; 4-byte Folded Reload
	v_fma_f64 v[180:181], v[16:17], s[2:3], v[4:5]
	v_fma_f64 v[168:169], v[16:17], s[10:11], v[4:5]
	;; [unrolled: 1-line block ×14, first 2 shown]
	s_wait_loadcnt 0x0
	ds_store_b128 v0, v[164:167]
	ds_store_b128 v0, v[196:199] offset:16
	ds_store_b128 v0, v[192:195] offset:32
	scratch_load_b32 v0, off, off offset:220 th:TH_LOAD_LU ; 4-byte Folded Reload
	s_wait_loadcnt 0x0
	ds_store_b128 v0, v[188:191]
	ds_store_b128 v0, v[180:183] offset:16
	ds_store_b128 v0, v[168:171] offset:32
	scratch_load_b32 v0, off, off offset:204 th:TH_LOAD_LU ; 4-byte Folded Reload
	s_wait_loadcnt 0x0
	ds_store_b128 v0, v[176:179]
	ds_store_b128 v0, v[160:163] offset:16
	ds_store_b128 v0, v[172:175] offset:32
	s_and_saveexec_b32 s1, vcc_lo
	s_cbranch_execz .LBB0_21
; %bb.20:
	scratch_load_b32 v0, off, off offset:388 th:TH_LOAD_LU ; 4-byte Folded Reload
	s_wait_loadcnt 0x0
	v_lshlrev_b32_e32 v0, 4, v0
	ds_store_b128 v0, v[184:187]
	ds_store_b128 v0, v[200:203] offset:16
	ds_store_b128 v0, v[204:207] offset:32
.LBB0_21:
	s_wait_alu 0xfffe
	s_or_b32 exec_lo, exec_lo, s1
	global_wb scope:SCOPE_SE
	s_wait_dscnt 0x0
	s_barrier_signal -1
	s_barrier_wait -1
	global_inv scope:SCOPE_SE
	s_and_saveexec_b32 s1, s0
	s_cbranch_execz .LBB0_23
; %bb.22:
	ds_load_b128 v[164:167], v255
	ds_load_b128 v[196:199], v255 offset:1584
	ds_load_b128 v[192:195], v255 offset:3168
	;; [unrolled: 1-line block ×12, first 2 shown]
.LBB0_23:
	s_wait_alu 0xfffe
	s_or_b32 exec_lo, exec_lo, s1
	scratch_load_b128 v[2:5], off, off offset:172 th:TH_LOAD_LU ; 16-byte Folded Reload
	s_mov_b32 s18, 0x42a4c3d2
	s_mov_b32 s19, 0xbfea55e2
	;; [unrolled: 1-line block ×19, first 2 shown]
	s_wait_alu 0xfffe
	s_mov_b32 s30, s24
	s_mov_b32 s22, 0xebaa3ed8
	;; [unrolled: 1-line block ×15, first 2 shown]
	s_wait_loadcnt_dscnt 0xb
	v_mul_f64_e32 v[0:1], v[4:5], v[196:197]
	s_delay_alu instid0(VALU_DEP_1) | instskip(SKIP_1) | instid1(VALU_DEP_1)
	v_fma_f64 v[211:212], v[2:3], v[198:199], -v[0:1]
	v_mul_f64_e32 v[0:1], v[4:5], v[198:199]
	v_fma_f64 v[213:214], v[2:3], v[196:197], v[0:1]
	scratch_load_b128 v[2:5], off, off offset:308 th:TH_LOAD_LU ; 16-byte Folded Reload
	s_wait_dscnt 0x0
	v_mul_f64_e32 v[0:1], v[90:91], v[132:133]
	s_delay_alu instid0(VALU_DEP_1) | instskip(SKIP_1) | instid1(VALU_DEP_2)
	v_fma_f64 v[52:53], v[88:89], v[134:135], -v[0:1]
	v_mul_f64_e32 v[0:1], v[90:91], v[134:135]
	v_add_f64_e64 v[20:21], v[211:212], -v[52:53]
	s_delay_alu instid0(VALU_DEP_2) | instskip(SKIP_1) | instid1(VALU_DEP_3)
	v_fma_f64 v[54:55], v[88:89], v[132:133], v[0:1]
	v_add_f64_e32 v[22:23], v[211:212], v[52:53]
	v_mul_f64_e32 v[26:27], s[18:19], v[20:21]
	s_delay_alu instid0(VALU_DEP_3) | instskip(SKIP_1) | instid1(VALU_DEP_4)
	v_add_f64_e32 v[18:19], v[213:214], v[54:55]
	v_add_f64_e64 v[24:25], v[213:214], -v[54:55]
	v_mul_f64_e32 v[28:29], s[10:11], v[22:23]
	v_mul_f64_e32 v[30:31], s[24:25], v[20:21]
	s_wait_alu 0xfffe
	v_mul_f64_e32 v[32:33], s[22:23], v[22:23]
	v_mul_f64_e32 v[34:35], s[14:15], v[20:21]
	;; [unrolled: 1-line block ×3, first 2 shown]
	s_wait_loadcnt 0x0
	v_mul_f64_e32 v[0:1], v[4:5], v[192:193]
	s_delay_alu instid0(VALU_DEP_1) | instskip(SKIP_1) | instid1(VALU_DEP_1)
	v_fma_f64 v[60:61], v[2:3], v[194:195], -v[0:1]
	v_mul_f64_e32 v[0:1], v[4:5], v[194:195]
	v_fma_f64 v[72:73], v[2:3], v[192:193], v[0:1]
	scratch_load_b128 v[2:5], off, off offset:340 th:TH_LOAD_LU ; 16-byte Folded Reload
	s_wait_loadcnt 0x0
	v_mul_f64_e32 v[0:1], v[4:5], v[204:205]
	s_delay_alu instid0(VALU_DEP_1) | instskip(SKIP_1) | instid1(VALU_DEP_1)
	v_fma_f64 v[64:65], v[2:3], v[206:207], -v[0:1]
	v_mul_f64_e32 v[0:1], v[4:5], v[206:207]
	v_fma_f64 v[66:67], v[2:3], v[204:205], v[0:1]
	scratch_load_b128 v[2:5], off, off offset:260 th:TH_LOAD_LU ; 16-byte Folded Reload
	v_add_f64_e32 v[68:69], v[72:73], v[66:67]
	s_wait_loadcnt 0x0
	v_mul_f64_e32 v[0:1], v[4:5], v[188:189]
	s_delay_alu instid0(VALU_DEP_1) | instskip(SKIP_1) | instid1(VALU_DEP_1)
	v_fma_f64 v[74:75], v[2:3], v[190:191], -v[0:1]
	v_mul_f64_e32 v[0:1], v[4:5], v[190:191]
	v_fma_f64 v[88:89], v[2:3], v[188:189], v[0:1]
	scratch_load_b128 v[2:5], off, off offset:292 th:TH_LOAD_LU ; 16-byte Folded Reload
	s_wait_loadcnt 0x0
	v_mul_f64_e32 v[0:1], v[4:5], v[200:201]
	s_delay_alu instid0(VALU_DEP_1) | instskip(SKIP_1) | instid1(VALU_DEP_1)
	v_fma_f64 v[78:79], v[2:3], v[202:203], -v[0:1]
	v_mul_f64_e32 v[0:1], v[4:5], v[202:203]
	v_fma_f64 v[82:83], v[2:3], v[200:201], v[0:1]
	scratch_load_b128 v[2:5], off, off offset:188 th:TH_LOAD_LU ; 16-byte Folded Reload
	v_add_f64_e64 v[188:189], v[88:89], -v[82:83]
	s_wait_loadcnt 0x0
	v_mul_f64_e32 v[0:1], v[4:5], v[180:181]
	s_delay_alu instid0(VALU_DEP_1) | instskip(SKIP_1) | instid1(VALU_DEP_1)
	v_fma_f64 v[90:91], v[2:3], v[182:183], -v[0:1]
	v_mul_f64_e32 v[0:1], v[4:5], v[182:183]
	v_fma_f64 v[134:135], v[2:3], v[180:181], v[0:1]
	scratch_load_b128 v[2:5], off, off offset:276 th:TH_LOAD_LU ; 16-byte Folded Reload
	v_add_f64_e64 v[180:181], v[72:73], -v[66:67]
	s_wait_loadcnt 0x0
	v_mul_f64_e32 v[0:1], v[4:5], v[184:185]
	s_delay_alu instid0(VALU_DEP_1) | instskip(SKIP_1) | instid1(VALU_DEP_2)
	v_fma_f64 v[62:63], v[2:3], v[186:187], -v[0:1]
	v_mul_f64_e32 v[0:1], v[4:5], v[186:187]
	v_add_f64_e32 v[182:183], v[90:91], v[62:63]
	s_delay_alu instid0(VALU_DEP_2)
	v_fma_f64 v[56:57], v[2:3], v[184:185], v[0:1]
	scratch_load_b128 v[2:5], off, off offset:228 th:TH_LOAD_LU ; 16-byte Folded Reload
	v_add_f64_e64 v[184:185], v[90:91], -v[62:63]
	v_mul_f64_e32 v[227:228], s[16:17], v[182:183]
	v_add_f64_e64 v[200:201], v[134:135], -v[56:57]
	v_mul_f64_e32 v[249:250], s[28:29], v[182:183]
	s_delay_alu instid0(VALU_DEP_4) | instskip(SKIP_3) | instid1(VALU_DEP_1)
	v_mul_f64_e32 v[217:218], s[26:27], v[184:185]
	v_mul_f64_e32 v[241:242], s[42:43], v[184:185]
	s_wait_loadcnt 0x0
	v_mul_f64_e32 v[0:1], v[4:5], v[168:169]
	v_fma_f64 v[58:59], v[2:3], v[170:171], -v[0:1]
	v_mul_f64_e32 v[0:1], v[4:5], v[170:171]
	s_delay_alu instid0(VALU_DEP_1) | instskip(SKIP_3) | instid1(VALU_DEP_1)
	v_fma_f64 v[170:171], v[2:3], v[168:169], v[0:1]
	scratch_load_b128 v[2:5], off, off offset:356 th:TH_LOAD_LU ; 16-byte Folded Reload
	s_wait_loadcnt 0x0
	v_mul_f64_e32 v[0:1], v[4:5], v[172:173]
	v_fma_f64 v[168:169], v[2:3], v[174:175], -v[0:1]
	v_mul_f64_e32 v[0:1], v[4:5], v[174:175]
	v_add_f64_e32 v[174:175], v[134:135], v[56:57]
	s_delay_alu instid0(VALU_DEP_3) | instskip(NEXT) | instid1(VALU_DEP_3)
	v_add_f64_e64 v[198:199], v[58:59], -v[168:169]
	v_fma_f64 v[224:225], v[2:3], v[172:173], v[0:1]
	scratch_load_b128 v[2:5], off, off offset:244 th:TH_LOAD_LU ; 16-byte Folded Reload
	v_add_f64_e32 v[172:173], v[74:75], v[78:79]
	v_add_f64_e32 v[190:191], v[58:59], v[168:169]
	v_mul_f64_e32 v[221:222], s[30:31], v[198:199]
	v_add_f64_e32 v[186:187], v[170:171], v[224:225]
	v_add_f64_e64 v[202:203], v[170:171], -v[224:225]
	v_mul_f64_e32 v[219:220], s[12:13], v[172:173]
	v_mul_f64_e32 v[233:234], s[22:23], v[190:191]
	;; [unrolled: 1-line block ×6, first 2 shown]
	s_wait_loadcnt 0x0
	v_mul_f64_e32 v[0:1], v[4:5], v[176:177]
	s_delay_alu instid0(VALU_DEP_1) | instskip(SKIP_2) | instid1(VALU_DEP_2)
	v_fma_f64 v[86:87], v[2:3], v[178:179], -v[0:1]
	v_mul_f64_e32 v[0:1], v[4:5], v[178:179]
	v_add_f64_e64 v[178:179], v[74:75], -v[78:79]
	v_fma_f64 v[48:49], v[2:3], v[176:177], v[0:1]
	scratch_load_b128 v[2:5], off, off offset:324 th:TH_LOAD_LU ; 16-byte Folded Reload
	v_add_f64_e64 v[176:177], v[60:61], -v[64:65]
	v_mul_f64_e32 v[215:216], s[20:21], v[178:179]
	v_mul_f64_e32 v[239:240], s[38:39], v[178:179]
	global_wb scope:SCOPE_SE
	s_wait_loadcnt 0x0
	s_barrier_signal -1
	s_barrier_wait -1
	global_inv scope:SCOPE_SE
	v_mul_f64_e32 v[132:133], s[14:15], v[176:177]
	v_mul_f64_e32 v[229:230], s[20:21], v[176:177]
	;; [unrolled: 1-line block ×4, first 2 shown]
	s_delay_alu instid0(VALU_DEP_1) | instskip(SKIP_2) | instid1(VALU_DEP_3)
	v_fma_f64 v[50:51], v[2:3], v[162:163], -v[0:1]
	v_mul_f64_e32 v[0:1], v[4:5], v[162:163]
	v_add_f64_e32 v[162:163], v[88:89], v[82:83]
	v_add_f64_e64 v[204:205], v[86:87], -v[50:51]
	s_delay_alu instid0(VALU_DEP_3)
	v_fma_f64 v[70:71], v[2:3], v[160:161], v[0:1]
	v_fma_f64 v[0:1], v[18:19], s[10:11], -v[26:27]
	v_fma_f64 v[2:3], v[68:69], s[2:3], -v[132:133]
	v_add_f64_e32 v[160:161], v[60:61], v[64:65]
	v_add_f64_e32 v[194:195], v[86:87], v[50:51]
	v_mul_f64_e32 v[231:232], s[42:43], v[204:205]
	v_add_f64_e32 v[192:193], v[48:49], v[70:71]
	v_add_f64_e32 v[0:1], v[164:165], v[0:1]
	v_add_f64_e64 v[206:207], v[48:49], -v[70:71]
	v_mul_f64_e32 v[80:81], s[2:3], v[160:161]
	v_mul_f64_e32 v[245:246], s[28:29], v[194:195]
	v_mul_f64_e32 v[235:236], s[12:13], v[160:161]
	v_mul_f64_e32 v[247:248], s[34:35], v[204:205]
	v_mul_f64_e32 v[208:209], s[16:17], v[194:195]
	v_add_f64_e32 v[0:1], v[2:3], v[0:1]
	v_fma_f64 v[2:3], v[24:25], s[18:19], v[28:29]
	v_fma_f64 v[4:5], v[180:181], s[14:15], v[80:81]
	s_delay_alu instid0(VALU_DEP_2) | instskip(NEXT) | instid1(VALU_DEP_1)
	v_add_f64_e32 v[2:3], v[166:167], v[2:3]
	v_add_f64_e32 v[2:3], v[4:5], v[2:3]
	v_fma_f64 v[4:5], v[162:163], s[12:13], -v[215:216]
	s_delay_alu instid0(VALU_DEP_1) | instskip(SKIP_1) | instid1(VALU_DEP_1)
	v_add_f64_e32 v[0:1], v[4:5], v[0:1]
	v_fma_f64 v[4:5], v[188:189], s[20:21], v[219:220]
	v_add_f64_e32 v[2:3], v[4:5], v[2:3]
	v_fma_f64 v[4:5], v[174:175], s[16:17], -v[217:218]
	s_delay_alu instid0(VALU_DEP_1) | instskip(SKIP_1) | instid1(VALU_DEP_1)
	v_add_f64_e32 v[0:1], v[4:5], v[0:1]
	v_fma_f64 v[4:5], v[200:201], s[26:27], v[227:228]
	;; [unrolled: 5-line block ×3, first 2 shown]
	v_add_f64_e32 v[2:3], v[4:5], v[2:3]
	v_fma_f64 v[4:5], v[192:193], s[28:29], -v[231:232]
	s_delay_alu instid0(VALU_DEP_1) | instskip(SKIP_2) | instid1(VALU_DEP_2)
	v_add_f64_e32 v[36:37], v[4:5], v[0:1]
	v_fma_f64 v[0:1], v[206:207], s[42:43], v[245:246]
	v_fma_f64 v[4:5], v[180:181], s[20:21], v[235:236]
	v_add_f64_e32 v[38:39], v[0:1], v[2:3]
	v_fma_f64 v[0:1], v[18:19], s[22:23], -v[30:31]
	v_fma_f64 v[2:3], v[68:69], s[12:13], -v[229:230]
	s_delay_alu instid0(VALU_DEP_2) | instskip(NEXT) | instid1(VALU_DEP_1)
	v_add_f64_e32 v[0:1], v[164:165], v[0:1]
	v_add_f64_e32 v[0:1], v[2:3], v[0:1]
	v_fma_f64 v[2:3], v[24:25], s[24:25], v[32:33]
	s_delay_alu instid0(VALU_DEP_1) | instskip(NEXT) | instid1(VALU_DEP_1)
	v_add_f64_e32 v[2:3], v[166:167], v[2:3]
	v_add_f64_e32 v[2:3], v[4:5], v[2:3]
	v_fma_f64 v[4:5], v[162:163], s[2:3], -v[239:240]
	s_delay_alu instid0(VALU_DEP_1) | instskip(SKIP_1) | instid1(VALU_DEP_1)
	v_add_f64_e32 v[0:1], v[4:5], v[0:1]
	v_fma_f64 v[4:5], v[188:189], s[38:39], v[251:252]
	v_add_f64_e32 v[2:3], v[4:5], v[2:3]
	v_fma_f64 v[4:5], v[174:175], s[28:29], -v[241:242]
	s_delay_alu instid0(VALU_DEP_1) | instskip(SKIP_1) | instid1(VALU_DEP_1)
	v_add_f64_e32 v[0:1], v[4:5], v[0:1]
	v_fma_f64 v[4:5], v[200:201], s[42:43], v[249:250]
	v_add_f64_e32 v[2:3], v[4:5], v[2:3]
	v_fma_f64 v[4:5], v[186:187], s[10:11], -v[243:244]
	s_delay_alu instid0(VALU_DEP_1) | instskip(SKIP_1) | instid1(VALU_DEP_1)
	v_add_f64_e32 v[0:1], v[4:5], v[0:1]
	v_fma_f64 v[4:5], v[202:203], s[18:19], v[253:254]
	v_add_f64_e32 v[2:3], v[4:5], v[2:3]
	v_fma_f64 v[4:5], v[192:193], s[16:17], -v[247:248]
	s_delay_alu instid0(VALU_DEP_1) | instskip(SKIP_1) | instid1(VALU_DEP_1)
	v_add_f64_e32 v[40:41], v[4:5], v[0:1]
	v_fma_f64 v[0:1], v[206:207], s[34:35], v[208:209]
	v_add_f64_e32 v[42:43], v[0:1], v[2:3]
	v_fma_f64 v[0:1], v[18:19], s[2:3], -v[34:35]
	v_fma_f64 v[2:3], v[68:69], s[16:17], -v[237:238]
	s_delay_alu instid0(VALU_DEP_2) | instskip(NEXT) | instid1(VALU_DEP_1)
	v_add_f64_e32 v[0:1], v[164:165], v[0:1]
	v_add_f64_e32 v[4:5], v[2:3], v[0:1]
	v_fma_f64 v[0:1], v[24:25], s[14:15], v[196:197]
	s_delay_alu instid0(VALU_DEP_1) | instskip(SKIP_1) | instid1(VALU_DEP_1)
	v_add_f64_e32 v[2:3], v[166:167], v[0:1]
	v_mul_f64_e32 v[0:1], s[16:17], v[160:161]
	v_fma_f64 v[6:7], v[180:181], s[26:27], v[0:1]
	s_delay_alu instid0(VALU_DEP_1) | instskip(SKIP_1) | instid1(VALU_DEP_1)
	v_add_f64_e32 v[6:7], v[6:7], v[2:3]
	v_mul_f64_e32 v[2:3], s[42:43], v[178:179]
	v_fma_f64 v[8:9], v[162:163], s[28:29], -v[2:3]
	s_delay_alu instid0(VALU_DEP_1) | instskip(SKIP_1) | instid1(VALU_DEP_1)
	v_add_f64_e32 v[8:9], v[8:9], v[4:5]
	v_fma_f64 v[4:5], v[188:189], s[42:43], v[12:13]
	v_add_f64_e32 v[6:7], v[4:5], v[6:7]
	v_mul_f64_e32 v[4:5], s[24:25], v[184:185]
	s_delay_alu instid0(VALU_DEP_1) | instskip(NEXT) | instid1(VALU_DEP_1)
	v_fma_f64 v[10:11], v[174:175], s[22:23], -v[4:5]
	v_add_f64_e32 v[8:9], v[10:11], v[8:9]
	v_mul_f64_e32 v[10:11], s[22:23], v[182:183]
	s_delay_alu instid0(VALU_DEP_1) | instskip(NEXT) | instid1(VALU_DEP_1)
	v_fma_f64 v[14:15], v[200:201], s[24:25], v[10:11]
	v_add_f64_e32 v[16:17], v[14:15], v[6:7]
	v_mul_f64_e32 v[6:7], s[36:37], v[198:199]
	s_delay_alu instid0(VALU_DEP_1) | instskip(NEXT) | instid1(VALU_DEP_1)
	v_fma_f64 v[14:15], v[186:187], s[12:13], -v[6:7]
	v_add_f64_e32 v[44:45], v[14:15], v[8:9]
	v_mul_f64_e32 v[14:15], s[12:13], v[190:191]
	s_delay_alu instid0(VALU_DEP_1) | instskip(NEXT) | instid1(VALU_DEP_1)
	;; [unrolled: 8-line block ×3, first 2 shown]
	v_fma_f64 v[76:77], v[206:207], s[40:41], v[16:17]
	v_add_f64_e32 v[46:47], v[76:77], v[46:47]
	s_and_saveexec_b32 s1, s0
	s_cbranch_execz .LBB0_25
; %bb.24:
	scratch_store_b64 off, v[78:79], off offset:172 ; 8-byte Folded Spill
	v_mul_f64_e32 v[78:79], s[2:3], v[18:19]
	v_mul_f64_e32 v[76:77], s[14:15], v[24:25]
	v_dual_mov_b32 v84, v168 :: v_dual_mov_b32 v85, v169
	v_dual_mov_b32 v169, v59 :: v_dual_mov_b32 v168, v58
	;; [unrolled: 1-line block ×4, first 2 shown]
	v_add_f64_e32 v[34:35], v[78:79], v[34:35]
	v_mul_f64_e32 v[78:79], s[24:25], v[24:25]
	v_add_f64_e64 v[76:77], v[196:197], -v[76:77]
	v_mul_f64_e32 v[196:197], s[42:43], v[180:181]
	s_delay_alu instid0(VALU_DEP_4) | instskip(NEXT) | instid1(VALU_DEP_4)
	v_add_f64_e32 v[34:35], v[164:165], v[34:35]
	v_add_f64_e64 v[32:33], v[32:33], -v[78:79]
	v_mul_f64_e32 v[78:79], s[22:23], v[18:19]
	v_add_f64_e32 v[76:77], v[166:167], v[76:77]
	s_delay_alu instid0(VALU_DEP_3) | instskip(NEXT) | instid1(VALU_DEP_3)
	v_add_f64_e32 v[32:33], v[166:167], v[32:33]
	v_add_f64_e32 v[30:31], v[78:79], v[30:31]
	v_mul_f64_e32 v[78:79], s[18:19], v[24:25]
	s_delay_alu instid0(VALU_DEP_2) | instskip(NEXT) | instid1(VALU_DEP_2)
	v_add_f64_e32 v[30:31], v[164:165], v[30:31]
	v_add_f64_e64 v[28:29], v[28:29], -v[78:79]
	v_mul_f64_e32 v[78:79], s[10:11], v[18:19]
	s_delay_alu instid0(VALU_DEP_2) | instskip(NEXT) | instid1(VALU_DEP_2)
	v_add_f64_e32 v[28:29], v[166:167], v[28:29]
	v_add_f64_e32 v[26:27], v[78:79], v[26:27]
	v_mul_f64_e32 v[78:79], s[42:43], v[188:189]
	s_delay_alu instid0(VALU_DEP_2)
	v_add_f64_e32 v[26:27], v[164:165], v[26:27]
	scratch_store_b64 off, v[78:79], off offset:444 ; 8-byte Folded Spill
	v_mul_f64_e32 v[78:79], s[42:43], v[200:201]
	s_clause 0x1
	scratch_store_b64 off, v[78:79], off offset:452
	scratch_store_b64 off, v[82:83], off offset:188
	v_mul_f64_e32 v[82:83], s[42:43], v[206:207]
	s_clause 0x3
	scratch_store_b64 off, v[88:89], off offset:244
	scratch_store_b64 off, v[90:91], off offset:260
	;; [unrolled: 1-line block ×4, first 2 shown]
	v_mul_f64_e32 v[88:89], s[42:43], v[176:177]
	v_mul_f64_e32 v[90:91], s[42:43], v[202:203]
	s_clause 0x3
	scratch_store_b64 off, v[64:65], off offset:204
	scratch_store_b64 off, v[66:67], off offset:212
	;; [unrolled: 1-line block ×4, first 2 shown]
	v_mul_f64_e32 v[64:65], s[42:43], v[198:199]
	s_mov_b32 s43, 0xbfddbe06
	v_mul_f64_e32 v[66:67], s[20:21], v[24:25]
	v_dual_mov_b32 v78, v221 :: v_dual_mov_b32 v79, v222
	v_dual_mov_b32 v223, v133 :: v_dual_mov_b32 v222, v132
	v_mul_f64_e32 v[132:133], s[34:35], v[24:25]
	s_wait_alu 0xfffe
	v_mul_f64_e32 v[24:25], s[42:43], v[24:25]
	s_clause 0x1
	scratch_store_b64 off, v[72:73], off offset:308
	scratch_store_b64 off, v[74:75], off offset:324
	v_dual_mov_b32 v62, v215 :: v_dual_mov_b32 v63, v216
	v_mul_f64_e32 v[215:216], s[34:35], v[20:21]
	v_dual_mov_b32 v56, v217 :: v_dual_mov_b32 v57, v218
	v_mul_f64_e32 v[220:221], s[30:31], v[204:205]
	v_fma_f64 v[72:73], v[22:23], s[12:13], v[66:67]
	v_fma_f64 v[66:67], v[22:23], s[12:13], -v[66:67]
	v_fma_f64 v[52:53], v[22:23], s[16:17], v[132:133]
	v_fma_f64 v[132:133], v[22:23], s[16:17], -v[132:133]
	;; [unrolled: 2-line block ×3, first 2 shown]
	v_mul_f64_e32 v[24:25], s[20:21], v[20:21]
	v_mul_f64_e32 v[20:21], s[42:43], v[20:21]
	v_add_f64_e32 v[66:67], v[166:167], v[66:67]
	v_add_f64_e32 v[52:53], v[166:167], v[52:53]
	;; [unrolled: 1-line block ×3, first 2 shown]
	scratch_store_b64 off, v[60:61], off offset:340 ; 8-byte Folded Spill
	v_fma_f64 v[74:75], v[18:19], s[12:13], -v[24:25]
	v_fma_f64 v[24:25], v[18:19], s[12:13], v[24:25]
	v_fma_f64 v[60:61], v[18:19], s[16:17], -v[215:216]
	v_fma_f64 v[215:216], v[18:19], s[16:17], v[215:216]
	;; [unrolled: 2-line block ×3, first 2 shown]
	v_add_f64_e32 v[20:21], v[166:167], v[211:212]
	scratch_store_b64 off, v[54:55], off offset:428 ; 8-byte Folded Spill
	v_add_f64_e32 v[24:25], v[164:165], v[24:25]
	v_add_f64_e32 v[60:61], v[164:165], v[60:61]
	;; [unrolled: 1-line block ×3, first 2 shown]
	v_mul_f64_e32 v[218:219], s[30:31], v[206:207]
	scratch_store_b64 off, v[20:21], off offset:356 ; 8-byte Folded Spill
	v_add_f64_e32 v[20:21], v[164:165], v[213:214]
	s_clause 0x1
	scratch_store_b64 off, v[54:55], off offset:436
	scratch_store_b64 off, v[20:21], off offset:388
	v_add_f64_e32 v[20:21], v[166:167], v[72:73]
	v_add_f64_e32 v[72:73], v[164:165], v[74:75]
	;; [unrolled: 1-line block ×5, first 2 shown]
	v_fma_f64 v[18:19], v[160:161], s[28:29], v[196:197]
	v_add_f64_e32 v[166:167], v[166:167], v[22:23]
	v_mul_f64_e32 v[22:23], s[34:35], v[188:189]
	v_fma_f64 v[196:197], v[160:161], s[28:29], -v[196:197]
	s_delay_alu instid0(VALU_DEP_4) | instskip(SKIP_2) | instid1(VALU_DEP_4)
	v_add_f64_e32 v[18:19], v[18:19], v[20:21]
	v_fma_f64 v[20:21], v[68:69], s[28:29], -v[88:89]
	v_fma_f64 v[88:89], v[68:69], s[28:29], v[88:89]
	v_add_f64_e32 v[66:67], v[196:197], v[66:67]
	v_mul_f64_e32 v[196:197], s[26:27], v[200:201]
	s_delay_alu instid0(VALU_DEP_4)
	v_add_f64_e32 v[20:21], v[20:21], v[72:73]
	v_fma_f64 v[72:73], v[172:173], s[16:17], v[22:23]
	v_fma_f64 v[22:23], v[172:173], s[16:17], -v[22:23]
	v_add_f64_e32 v[24:25], v[88:89], v[24:25]
	v_mul_f64_e32 v[88:89], s[2:3], v[68:69]
	v_add_f64_e64 v[196:197], v[227:228], -v[196:197]
	v_add_f64_e32 v[18:19], v[72:73], v[18:19]
	v_mul_f64_e32 v[72:73], s[34:35], v[178:179]
	v_add_f64_e32 v[22:23], v[22:23], v[66:67]
	v_add_f64_e32 v[88:89], v[88:89], v[222:223]
	s_delay_alu instid0(VALU_DEP_3) | instskip(SKIP_2) | instid1(VALU_DEP_4)
	v_fma_f64 v[216:217], v[162:163], s[16:17], -v[72:73]
	v_fma_f64 v[66:67], v[162:163], s[16:17], v[72:73]
	v_mul_f64_e32 v[72:73], s[12:13], v[162:163]
	v_add_f64_e32 v[26:27], v[88:89], v[26:27]
	v_mul_f64_e32 v[88:89], s[18:19], v[202:203]
	v_add_f64_e32 v[20:21], v[216:217], v[20:21]
	;; [unrolled: 2-line block ×3, first 2 shown]
	v_add_f64_e32 v[72:73], v[72:73], v[62:63]
	v_add_f64_e64 v[88:89], v[253:254], -v[88:89]
	s_delay_alu instid0(VALU_DEP_4) | instskip(SKIP_1) | instid1(VALU_DEP_4)
	v_fma_f64 v[210:211], v[182:183], s[10:11], v[216:217]
	v_fma_f64 v[66:67], v[182:183], s[10:11], -v[216:217]
	v_add_f64_e32 v[26:27], v[72:73], v[26:27]
	v_add_f64_e64 v[72:73], v[245:246], -v[82:83]
	v_mul_f64_e32 v[82:83], s[28:29], v[174:175]
	v_add_f64_e32 v[18:19], v[210:211], v[18:19]
	v_mul_f64_e32 v[210:211], s[40:41], v[184:185]
	v_add_f64_e32 v[22:23], v[66:67], v[22:23]
	s_delay_alu instid0(VALU_DEP_4) | instskip(NEXT) | instid1(VALU_DEP_3)
	v_add_f64_e32 v[82:83], v[82:83], v[241:242]
	v_fma_f64 v[212:213], v[174:175], s[10:11], -v[210:211]
	v_fma_f64 v[66:67], v[174:175], s[10:11], v[210:211]
	v_mul_f64_e32 v[210:211], s[16:17], v[174:175]
	s_delay_alu instid0(VALU_DEP_3) | instskip(SKIP_1) | instid1(VALU_DEP_4)
	v_add_f64_e32 v[20:21], v[212:213], v[20:21]
	v_mul_f64_e32 v[212:213], s[14:15], v[202:203]
	v_add_f64_e32 v[24:25], v[66:67], v[24:25]
	s_delay_alu instid0(VALU_DEP_2) | instskip(SKIP_1) | instid1(VALU_DEP_2)
	v_fma_f64 v[54:55], v[190:191], s[2:3], v[212:213]
	v_fma_f64 v[66:67], v[190:191], s[2:3], -v[212:213]
	v_add_f64_e32 v[18:19], v[54:55], v[18:19]
	v_mul_f64_e32 v[54:55], s[14:15], v[198:199]
	s_delay_alu instid0(VALU_DEP_3) | instskip(SKIP_1) | instid1(VALU_DEP_3)
	v_add_f64_e32 v[22:23], v[66:67], v[22:23]
	v_fma_f64 v[66:67], v[192:193], s[22:23], v[220:221]
	v_fma_f64 v[214:215], v[186:187], s[2:3], -v[54:55]
	v_fma_f64 v[54:55], v[186:187], s[2:3], v[54:55]
	s_delay_alu instid0(VALU_DEP_2) | instskip(NEXT) | instid1(VALU_DEP_2)
	v_add_f64_e32 v[214:215], v[214:215], v[20:21]
	v_add_f64_e32 v[54:55], v[54:55], v[24:25]
	v_fma_f64 v[24:25], v[194:195], s[22:23], -v[218:219]
	v_fma_f64 v[20:21], v[194:195], s[22:23], v[218:219]
	s_delay_alu instid0(VALU_DEP_2) | instskip(NEXT) | instid1(VALU_DEP_4)
	v_add_f64_e32 v[24:25], v[24:25], v[22:23]
	v_add_f64_e32 v[22:23], v[66:67], v[54:55]
	v_mul_f64_e32 v[66:67], s[14:15], v[180:181]
	v_mul_f64_e32 v[54:55], s[20:21], v[188:189]
	v_add_f64_e32 v[20:21], v[20:21], v[18:19]
	v_fma_f64 v[18:19], v[192:193], s[22:23], -v[220:221]
	s_delay_alu instid0(VALU_DEP_4)
	v_add_f64_e64 v[66:67], v[80:81], -v[66:67]
	v_add_f64_e32 v[80:81], v[210:211], v[56:57]
	scratch_load_b64 v[56:57], off, off offset:452 th:TH_LOAD_LU ; 8-byte Folded Reload
	v_add_f64_e64 v[54:55], v[134:135], -v[54:55]
	v_add_f64_e32 v[18:19], v[18:19], v[214:215]
	v_add_f64_e32 v[28:29], v[66:67], v[28:29]
	v_mul_f64_e32 v[66:67], s[30:31], v[202:203]
	v_add_f64_e32 v[26:27], v[80:81], v[26:27]
	v_mul_f64_e32 v[80:81], s[28:29], v[192:193]
	s_delay_alu instid0(VALU_DEP_4) | instskip(NEXT) | instid1(VALU_DEP_4)
	v_add_f64_e32 v[28:29], v[54:55], v[28:29]
	v_add_f64_e64 v[66:67], v[233:234], -v[66:67]
	v_mul_f64_e32 v[54:55], s[22:23], v[186:187]
	s_delay_alu instid0(VALU_DEP_4) | instskip(NEXT) | instid1(VALU_DEP_4)
	v_add_f64_e32 v[80:81], v[80:81], v[231:232]
	v_add_f64_e32 v[28:29], v[196:197], v[28:29]
	s_delay_alu instid0(VALU_DEP_3) | instskip(NEXT) | instid1(VALU_DEP_2)
	v_add_f64_e32 v[54:55], v[54:55], v[78:79]
	v_add_f64_e32 v[28:29], v[66:67], v[28:29]
	v_mul_f64_e32 v[66:67], s[20:21], v[180:181]
	s_delay_alu instid0(VALU_DEP_3) | instskip(SKIP_1) | instid1(VALU_DEP_4)
	v_add_f64_e32 v[26:27], v[54:55], v[26:27]
	v_mul_f64_e32 v[54:55], s[38:39], v[188:189]
	v_add_f64_e32 v[28:29], v[72:73], v[28:29]
	s_delay_alu instid0(VALU_DEP_4) | instskip(NEXT) | instid1(VALU_DEP_4)
	v_add_f64_e64 v[66:67], v[235:236], -v[66:67]
	v_add_f64_e32 v[26:27], v[80:81], v[26:27]
	s_delay_alu instid0(VALU_DEP_4) | instskip(SKIP_4) | instid1(VALU_DEP_4)
	v_add_f64_e64 v[54:55], v[251:252], -v[54:55]
	v_mul_f64_e32 v[80:81], s[12:13], v[68:69]
	v_mul_f64_e32 v[72:73], s[2:3], v[162:163]
	v_add_f64_e32 v[32:33], v[66:67], v[32:33]
	v_mul_f64_e32 v[66:67], s[10:11], v[186:187]
	v_add_f64_e32 v[80:81], v[80:81], v[229:230]
	s_delay_alu instid0(VALU_DEP_4) | instskip(NEXT) | instid1(VALU_DEP_4)
	v_add_f64_e32 v[72:73], v[72:73], v[239:240]
	v_add_f64_e32 v[32:33], v[54:55], v[32:33]
	v_mul_f64_e32 v[54:55], s[34:35], v[206:207]
	v_add_f64_e32 v[66:67], v[66:67], v[243:244]
	v_add_f64_e32 v[30:31], v[80:81], v[30:31]
	s_delay_alu instid0(VALU_DEP_3) | instskip(NEXT) | instid1(VALU_DEP_2)
	v_add_f64_e64 v[54:55], v[208:209], -v[54:55]
	v_add_f64_e32 v[30:31], v[72:73], v[30:31]
	v_mul_f64_e32 v[72:73], s[16:17], v[192:193]
	s_wait_loadcnt 0x0
	v_add_f64_e64 v[78:79], v[249:250], -v[56:57]
	s_delay_alu instid0(VALU_DEP_3) | instskip(NEXT) | instid1(VALU_DEP_3)
	v_add_f64_e32 v[30:31], v[82:83], v[30:31]
	v_add_f64_e32 v[72:73], v[72:73], v[247:248]
	s_delay_alu instid0(VALU_DEP_3) | instskip(SKIP_1) | instid1(VALU_DEP_4)
	v_add_f64_e32 v[32:33], v[78:79], v[32:33]
	v_mul_f64_e32 v[78:79], s[20:21], v[204:205]
	v_add_f64_e32 v[30:31], v[66:67], v[30:31]
	v_mul_f64_e32 v[66:67], s[24:25], v[200:201]
	s_delay_alu instid0(VALU_DEP_4) | instskip(NEXT) | instid1(VALU_DEP_3)
	v_add_f64_e32 v[32:33], v[88:89], v[32:33]
	v_add_f64_e32 v[30:31], v[72:73], v[30:31]
	s_delay_alu instid0(VALU_DEP_3)
	v_add_f64_e64 v[10:11], v[10:11], -v[66:67]
	v_mul_f64_e32 v[66:67], s[22:23], v[174:175]
	v_mul_f64_e32 v[72:73], s[14:15], v[204:205]
	v_add_f64_e32 v[32:33], v[54:55], v[32:33]
	s_clause 0x2
	scratch_load_b64 v[54:55], off, off offset:444 th:TH_LOAD_LU
	scratch_load_b64 v[56:57], off, off offset:340 th:TH_LOAD_LU
	;; [unrolled: 1-line block ×3, first 2 shown]
	v_add_f64_e32 v[4:5], v[66:67], v[4:5]
	v_mul_f64_e32 v[66:67], s[36:37], v[202:203]
	s_delay_alu instid0(VALU_DEP_1) | instskip(SKIP_4) | instid1(VALU_DEP_1)
	v_add_f64_e64 v[14:15], v[14:15], -v[66:67]
	v_mul_f64_e32 v[66:67], s[14:15], v[206:207]
	s_wait_loadcnt 0x2
	v_add_f64_e64 v[12:13], v[12:13], -v[54:55]
	v_mul_f64_e32 v[54:55], s[26:27], v[180:181]
	v_add_f64_e64 v[0:1], v[0:1], -v[54:55]
	v_mul_f64_e32 v[54:55], s[28:29], v[162:163]
	s_delay_alu instid0(VALU_DEP_2) | instskip(NEXT) | instid1(VALU_DEP_2)
	v_add_f64_e32 v[0:1], v[0:1], v[76:77]
	v_add_f64_e32 v[2:3], v[54:55], v[2:3]
	v_mul_f64_e32 v[54:55], s[16:17], v[68:69]
	v_mul_f64_e32 v[76:77], s[20:21], v[206:207]
	s_delay_alu instid0(VALU_DEP_4) | instskip(SKIP_1) | instid1(VALU_DEP_4)
	v_add_f64_e32 v[0:1], v[12:13], v[0:1]
	v_mul_f64_e32 v[12:13], s[40:41], v[206:207]
	v_add_f64_e32 v[54:55], v[54:55], v[237:238]
	s_delay_alu instid0(VALU_DEP_3) | instskip(NEXT) | instid1(VALU_DEP_3)
	v_add_f64_e32 v[0:1], v[10:11], v[0:1]
	v_add_f64_e64 v[12:13], v[16:17], -v[12:13]
	s_delay_alu instid0(VALU_DEP_3) | instskip(SKIP_3) | instid1(VALU_DEP_4)
	v_add_f64_e32 v[34:35], v[54:55], v[34:35]
	v_mul_f64_e32 v[54:55], s[12:13], v[186:187]
	v_mul_f64_e32 v[10:11], s[30:31], v[176:177]
	v_add_f64_e32 v[0:1], v[14:15], v[0:1]
	v_add_f64_e32 v[2:3], v[2:3], v[34:35]
	s_delay_alu instid0(VALU_DEP_4) | instskip(NEXT) | instid1(VALU_DEP_2)
	v_add_f64_e32 v[6:7], v[54:55], v[6:7]
	v_add_f64_e32 v[2:3], v[4:5], v[2:3]
	v_mul_f64_e32 v[4:5], s[10:11], v[192:193]
	s_delay_alu instid0(VALU_DEP_2) | instskip(NEXT) | instid1(VALU_DEP_2)
	v_add_f64_e32 v[6:7], v[6:7], v[2:3]
	v_add_f64_e32 v[4:5], v[4:5], v[8:9]
	v_mul_f64_e32 v[8:9], s[30:31], v[180:181]
	v_add_f64_e32 v[2:3], v[12:13], v[0:1]
	v_mul_f64_e32 v[12:13], s[18:19], v[188:189]
	s_delay_alu instid0(VALU_DEP_4) | instskip(NEXT) | instid1(VALU_DEP_4)
	v_add_f64_e32 v[0:1], v[4:5], v[6:7]
	v_fma_f64 v[4:5], v[160:161], s[22:23], -v[8:9]
	v_fma_f64 v[6:7], v[68:69], s[22:23], v[10:11]
	s_delay_alu instid0(VALU_DEP_4)
	v_fma_f64 v[14:15], v[172:173], s[10:11], -v[12:13]
	v_fma_f64 v[8:9], v[160:161], s[22:23], v[8:9]
	v_fma_f64 v[10:11], v[68:69], s[22:23], -v[10:11]
	v_fma_f64 v[12:13], v[172:173], s[10:11], v[12:13]
	v_add_f64_e32 v[4:5], v[4:5], v[74:75]
	v_add_f64_e32 v[6:7], v[6:7], v[132:133]
	;; [unrolled: 1-line block ×4, first 2 shown]
	v_mul_f64_e32 v[52:53], s[24:25], v[188:189]
	v_add_f64_e32 v[4:5], v[14:15], v[4:5]
	v_mul_f64_e32 v[14:15], s[18:19], v[178:179]
	v_add_f64_e32 v[8:9], v[12:13], v[8:9]
	s_delay_alu instid0(VALU_DEP_2) | instskip(SKIP_2) | instid1(VALU_DEP_3)
	v_fma_f64 v[16:17], v[162:163], s[10:11], v[14:15]
	v_fma_f64 v[12:13], v[162:163], s[10:11], -v[14:15]
	v_fma_f64 v[14:15], v[192:193], s[2:3], -v[72:73]
	v_add_f64_e32 v[6:7], v[16:17], v[6:7]
	v_mul_f64_e32 v[16:17], s[36:37], v[200:201]
	s_delay_alu instid0(VALU_DEP_4) | instskip(NEXT) | instid1(VALU_DEP_2)
	v_add_f64_e32 v[10:11], v[12:13], v[10:11]
	v_fma_f64 v[34:35], v[182:183], s[12:13], -v[16:17]
	v_fma_f64 v[12:13], v[182:183], s[12:13], v[16:17]
	v_mul_f64_e32 v[16:17], s[18:19], v[180:181]
	s_delay_alu instid0(VALU_DEP_3) | instskip(SKIP_1) | instid1(VALU_DEP_4)
	v_add_f64_e32 v[4:5], v[34:35], v[4:5]
	v_mul_f64_e32 v[34:35], s[36:37], v[184:185]
	v_add_f64_e32 v[8:9], v[12:13], v[8:9]
	s_delay_alu instid0(VALU_DEP_2) | instskip(SKIP_2) | instid1(VALU_DEP_3)
	v_fma_f64 v[54:55], v[174:175], s[12:13], v[34:35]
	v_fma_f64 v[12:13], v[174:175], s[12:13], -v[34:35]
	v_mul_f64_e32 v[34:35], s[18:19], v[176:177]
	v_add_f64_e32 v[6:7], v[54:55], v[6:7]
	v_fma_f64 v[54:55], v[190:191], s[28:29], -v[90:91]
	s_delay_alu instid0(VALU_DEP_4) | instskip(SKIP_1) | instid1(VALU_DEP_3)
	v_add_f64_e32 v[10:11], v[12:13], v[10:11]
	v_fma_f64 v[12:13], v[190:191], s[28:29], v[90:91]
	v_add_f64_e32 v[4:5], v[54:55], v[4:5]
	v_fma_f64 v[54:55], v[186:187], s[28:29], v[64:65]
	s_delay_alu instid0(VALU_DEP_3) | instskip(SKIP_1) | instid1(VALU_DEP_3)
	v_add_f64_e32 v[8:9], v[12:13], v[8:9]
	v_fma_f64 v[12:13], v[186:187], s[28:29], -v[64:65]
	v_add_f64_e32 v[54:55], v[54:55], v[6:7]
	v_fma_f64 v[6:7], v[194:195], s[2:3], -v[66:67]
	s_delay_alu instid0(VALU_DEP_3) | instskip(SKIP_1) | instid1(VALU_DEP_3)
	v_add_f64_e32 v[12:13], v[12:13], v[10:11]
	v_fma_f64 v[10:11], v[194:195], s[2:3], v[66:67]
	v_add_f64_e32 v[6:7], v[6:7], v[4:5]
	v_fma_f64 v[4:5], v[192:193], s[2:3], v[72:73]
	s_delay_alu instid0(VALU_DEP_3)
	v_add_f64_e32 v[10:11], v[10:11], v[8:9]
	v_add_f64_e32 v[8:9], v[14:15], v[12:13]
	v_fma_f64 v[12:13], v[160:161], s[10:11], -v[16:17]
	v_fma_f64 v[14:15], v[68:69], s[10:11], v[34:35]
	v_fma_f64 v[16:17], v[160:161], s[10:11], v[16:17]
	v_fma_f64 v[34:35], v[68:69], s[10:11], -v[34:35]
	v_add_f64_e32 v[4:5], v[4:5], v[54:55]
	v_fma_f64 v[54:55], v[172:173], s[22:23], -v[52:53]
	v_fma_f64 v[52:53], v[172:173], s[22:23], v[52:53]
	v_add_f64_e32 v[12:13], v[12:13], v[166:167]
	v_add_f64_e32 v[14:15], v[14:15], v[164:165]
	s_delay_alu instid0(VALU_DEP_2) | instskip(SKIP_1) | instid1(VALU_DEP_1)
	v_add_f64_e32 v[12:13], v[54:55], v[12:13]
	v_mul_f64_e32 v[54:55], s[24:25], v[178:179]
	v_fma_f64 v[60:61], v[162:163], s[22:23], v[54:55]
	v_fma_f64 v[54:55], v[162:163], s[22:23], -v[54:55]
	s_delay_alu instid0(VALU_DEP_2) | instskip(SKIP_1) | instid1(VALU_DEP_1)
	v_add_f64_e32 v[14:15], v[60:61], v[14:15]
	v_mul_f64_e32 v[60:61], s[14:15], v[200:201]
	v_fma_f64 v[64:65], v[182:183], s[2:3], -v[60:61]
	s_delay_alu instid0(VALU_DEP_1) | instskip(SKIP_1) | instid1(VALU_DEP_1)
	v_add_f64_e32 v[12:13], v[64:65], v[12:13]
	v_mul_f64_e32 v[64:65], s[14:15], v[184:185]
	v_fma_f64 v[66:67], v[174:175], s[2:3], v[64:65]
	s_delay_alu instid0(VALU_DEP_1) | instskip(SKIP_1) | instid1(VALU_DEP_1)
	v_add_f64_e32 v[14:15], v[66:67], v[14:15]
	v_mul_f64_e32 v[66:67], s[34:35], v[202:203]
	v_fma_f64 v[72:73], v[190:191], s[16:17], -v[66:67]
	s_delay_alu instid0(VALU_DEP_1) | instskip(SKIP_1) | instid1(VALU_DEP_1)
	v_add_f64_e32 v[12:13], v[72:73], v[12:13]
	v_mul_f64_e32 v[72:73], s[34:35], v[198:199]
	v_fma_f64 v[74:75], v[186:187], s[16:17], v[72:73]
	s_delay_alu instid0(VALU_DEP_1) | instskip(SKIP_1) | instid1(VALU_DEP_1)
	v_add_f64_e32 v[74:75], v[74:75], v[14:15]
	v_fma_f64 v[14:15], v[194:195], s[12:13], -v[76:77]
	v_add_f64_e32 v[14:15], v[14:15], v[12:13]
	v_fma_f64 v[12:13], v[192:193], s[12:13], v[78:79]
	s_delay_alu instid0(VALU_DEP_1)
	v_add_f64_e32 v[12:13], v[12:13], v[74:75]
	s_wait_loadcnt 0x0
	v_add_f64_e32 v[74:75], v[62:63], v[56:57]
	s_clause 0x1
	scratch_load_b64 v[56:57], off, off offset:308 th:TH_LOAD_LU
	scratch_load_b64 v[62:63], off, off offset:388 th:TH_LOAD_LU
	s_wait_loadcnt 0x0
	v_add_f64_e32 v[80:81], v[62:63], v[56:57]
	scratch_load_b64 v[56:57], off, off offset:324 th:TH_LOAD_LU ; 8-byte Folded Reload
	s_wait_loadcnt 0x0
	v_add_f64_e32 v[74:75], v[74:75], v[56:57]
	scratch_load_b64 v[56:57], off, off offset:244 th:TH_LOAD_LU ; 8-byte Folded Reload
	;; [unrolled: 3-line block ×3, first 2 shown]
	v_add_f64_e32 v[80:81], v[80:81], v[58:59]
	s_wait_loadcnt 0x0
	v_add_f64_e32 v[74:75], v[74:75], v[56:57]
	scratch_load_b64 v[56:57], off, off offset:276 th:TH_LOAD_LU ; 8-byte Folded Reload
	v_add_f64_e32 v[58:59], v[74:75], v[168:169]
	v_add_f64_e32 v[74:75], v[80:81], v[170:171]
	s_delay_alu instid0(VALU_DEP_2) | instskip(NEXT) | instid1(VALU_DEP_2)
	v_add_f64_e32 v[58:59], v[58:59], v[86:87]
	v_add_f64_e32 v[48:49], v[74:75], v[48:49]
	s_delay_alu instid0(VALU_DEP_2) | instskip(NEXT) | instid1(VALU_DEP_2)
	v_add_f64_e32 v[50:51], v[58:59], v[50:51]
	v_add_f64_e32 v[48:49], v[48:49], v[70:71]
	v_fma_f64 v[58:59], v[174:175], s[2:3], -v[64:65]
	s_delay_alu instid0(VALU_DEP_3) | instskip(NEXT) | instid1(VALU_DEP_3)
	v_add_f64_e32 v[50:51], v[50:51], v[84:85]
	v_add_f64_e32 v[48:49], v[48:49], v[224:225]
	s_wait_loadcnt 0x0
	s_delay_alu instid0(VALU_DEP_2)
	v_add_f64_e32 v[50:51], v[50:51], v[56:57]
	scratch_load_b64 v[56:57], off, off offset:292 th:TH_LOAD_LU ; 8-byte Folded Reload
	s_wait_loadcnt 0x0
	v_add_f64_e32 v[48:49], v[48:49], v[56:57]
	scratch_load_b64 v[56:57], off, off offset:172 th:TH_LOAD_LU ; 8-byte Folded Reload
	s_wait_loadcnt 0x0
	;; [unrolled: 3-line block ×8, first 2 shown]
	v_add_f64_e32 v[16:17], v[16:17], v[56:57]
	scratch_load_b64 v[56:57], off, off offset:436 th:TH_LOAD_LU ; 8-byte Folded Reload
	v_add_f64_e32 v[16:17], v[52:53], v[16:17]
	v_fma_f64 v[52:53], v[190:191], s[16:17], v[66:67]
	s_wait_loadcnt 0x0
	v_add_f64_e32 v[34:35], v[34:35], v[56:57]
	v_fma_f64 v[56:57], v[182:183], s[2:3], v[60:61]
	s_delay_alu instid0(VALU_DEP_2) | instskip(NEXT) | instid1(VALU_DEP_2)
	v_add_f64_e32 v[34:35], v[54:55], v[34:35]
	v_add_f64_e32 v[16:17], v[56:57], v[16:17]
	v_fma_f64 v[54:55], v[186:187], s[16:17], -v[72:73]
	v_fma_f64 v[56:57], v[194:195], s[12:13], v[76:77]
	s_delay_alu instid0(VALU_DEP_4) | instskip(NEXT) | instid1(VALU_DEP_4)
	v_add_f64_e32 v[34:35], v[58:59], v[34:35]
	v_add_f64_e32 v[16:17], v[52:53], v[16:17]
	v_fma_f64 v[58:59], v[192:193], s[12:13], -v[78:79]
	s_delay_alu instid0(VALU_DEP_3) | instskip(NEXT) | instid1(VALU_DEP_3)
	v_add_f64_e32 v[34:35], v[54:55], v[34:35]
	v_add_f64_e32 v[54:55], v[56:57], v[16:17]
	s_clause 0x1
	scratch_load_b32 v16, off, off offset:168 th:TH_LOAD_LU
	scratch_load_b32 v17, off, off offset:164 th:TH_LOAD_LU
	v_add_f64_e32 v[52:53], v[58:59], v[34:35]
	s_wait_loadcnt 0x1
	v_mul_u32_u24_e32 v16, 39, v16
	s_wait_loadcnt 0x0
	s_delay_alu instid0(VALU_DEP_1)
	v_add_lshl_u32 v16, v16, v17, 4
	ds_store_b128 v16, v[26:29] offset:96
	ds_store_b128 v16, v[30:33] offset:144
	;; [unrolled: 1-line block ×11, first 2 shown]
	ds_store_b128 v16, v[48:51]
	ds_store_b128 v16, v[52:55] offset:576
.LBB0_25:
	s_wait_alu 0xfffe
	s_or_b32 exec_lo, exec_lo, s1
	global_wb scope:SCOPE_SE
	s_wait_storecnt_dscnt 0x0
	s_barrier_signal -1
	s_barrier_wait -1
	global_inv scope:SCOPE_SE
	ds_load_b128 v[56:59], v255
	ds_load_b128 v[48:51], v255 offset:1872
	ds_load_b128 v[72:75], v255 offset:13728
	;; [unrolled: 1-line block ×8, first 2 shown]
	s_and_saveexec_b32 s0, vcc_lo
	s_cbranch_execz .LBB0_27
; %bb.26:
	ds_load_b128 v[44:47], v255 offset:5616
	ds_load_b128 v[40:43], v255 offset:12480
	;; [unrolled: 1-line block ×3, first 2 shown]
.LBB0_27:
	s_wait_alu 0xfffe
	s_or_b32 exec_lo, exec_lo, s0
	s_wait_dscnt 0x4
	v_mul_f64_e32 v[0:1], v[106:107], v[90:91]
	v_mul_f64_e32 v[2:3], v[102:103], v[74:75]
	;; [unrolled: 1-line block ×4, first 2 shown]
	s_wait_dscnt 0x2
	v_mul_f64_e32 v[8:9], v[114:115], v[86:87]
	v_mul_f64_e32 v[10:11], v[110:111], v[62:63]
	;; [unrolled: 1-line block ×4, first 2 shown]
	s_wait_dscnt 0x1
	v_mul_f64_e32 v[16:17], v[98:99], v[66:67]
	s_wait_dscnt 0x0
	v_mul_f64_e32 v[18:19], v[94:95], v[70:71]
	v_mul_f64_e32 v[20:21], v[98:99], v[64:65]
	v_mul_f64_e32 v[22:23], v[94:95], v[68:69]
	s_mov_b32 s0, 0xe8584caa
	s_mov_b32 s1, 0xbfebb67a
	;; [unrolled: 1-line block ×3, first 2 shown]
	s_wait_alu 0xfffe
	s_mov_b32 s2, s0
	global_wb scope:SCOPE_SE
	s_barrier_signal -1
	s_barrier_wait -1
	global_inv scope:SCOPE_SE
	v_fma_f64 v[0:1], v[104:105], v[88:89], v[0:1]
	v_fma_f64 v[2:3], v[100:101], v[72:73], v[2:3]
	v_fma_f64 v[4:5], v[104:105], v[90:91], -v[4:5]
	v_fma_f64 v[6:7], v[100:101], v[74:75], -v[6:7]
	v_fma_f64 v[8:9], v[112:113], v[84:85], v[8:9]
	v_fma_f64 v[10:11], v[108:109], v[60:61], v[10:11]
	v_fma_f64 v[12:13], v[112:113], v[86:87], -v[12:13]
	v_fma_f64 v[14:15], v[108:109], v[62:63], -v[14:15]
	;; [unrolled: 4-line block ×3, first 2 shown]
	v_add_f64_e32 v[60:61], v[56:57], v[0:1]
	v_add_f64_e32 v[24:25], v[0:1], v[2:3]
	;; [unrolled: 1-line block ×3, first 2 shown]
	v_add_f64_e64 v[62:63], v[4:5], -v[6:7]
	v_add_f64_e32 v[28:29], v[8:9], v[10:11]
	v_add_f64_e32 v[4:5], v[58:59], v[4:5]
	v_add_f64_e32 v[30:31], v[12:13], v[14:15]
	v_add_f64_e32 v[64:65], v[48:49], v[8:9]
	v_add_f64_e32 v[32:33], v[16:17], v[18:19]
	v_add_f64_e32 v[66:67], v[50:51], v[12:13]
	v_add_f64_e32 v[68:69], v[52:53], v[16:17]
	v_add_f64_e32 v[70:71], v[54:55], v[20:21]
	v_add_f64_e32 v[34:35], v[20:21], v[22:23]
	v_fma_f64 v[24:25], v[24:25], -0.5, v[56:57]
	v_add_f64_e64 v[56:57], v[0:1], -v[2:3]
	v_fma_f64 v[26:27], v[26:27], -0.5, v[58:59]
	v_add_f64_e64 v[58:59], v[12:13], -v[14:15]
	v_fma_f64 v[28:29], v[28:29], -0.5, v[48:49]
	v_add_f64_e64 v[48:49], v[8:9], -v[10:11]
	v_fma_f64 v[30:31], v[30:31], -0.5, v[50:51]
	v_add_f64_e64 v[50:51], v[20:21], -v[22:23]
	v_fma_f64 v[32:33], v[32:33], -0.5, v[52:53]
	v_add_f64_e64 v[52:53], v[16:17], -v[18:19]
	v_add_f64_e32 v[0:1], v[60:61], v[2:3]
	v_add_f64_e32 v[2:3], v[4:5], v[6:7]
	;; [unrolled: 1-line block ×6, first 2 shown]
	v_fma_f64 v[34:35], v[34:35], -0.5, v[54:55]
	v_fma_f64 v[12:13], v[62:63], s[0:1], v[24:25]
	s_wait_alu 0xfffe
	v_fma_f64 v[16:17], v[62:63], s[2:3], v[24:25]
	v_fma_f64 v[14:15], v[56:57], s[2:3], v[26:27]
	;; [unrolled: 1-line block ×7, first 2 shown]
	scratch_load_b32 v48, off, off offset:384 th:TH_LOAD_LU ; 4-byte Folded Reload
	v_fma_f64 v[28:29], v[50:51], s[0:1], v[32:33]
	v_fma_f64 v[32:33], v[50:51], s[2:3], v[32:33]
	s_wait_loadcnt 0x0
	ds_store_b128 v48, v[0:3]
	ds_store_b128 v48, v[12:15] offset:624
	ds_store_b128 v48, v[16:19] offset:1248
	scratch_load_b32 v0, off, off offset:380 th:TH_LOAD_LU ; 4-byte Folded Reload
	v_fma_f64 v[30:31], v[52:53], s[2:3], v[34:35]
	v_fma_f64 v[34:35], v[52:53], s[0:1], v[34:35]
	s_wait_loadcnt 0x0
	ds_store_b128 v0, v[4:7]
	ds_store_b128 v0, v[20:23] offset:624
	ds_store_b128 v0, v[24:27] offset:1248
	scratch_load_b32 v0, off, off offset:376 th:TH_LOAD_LU ; 4-byte Folded Reload
	s_wait_loadcnt 0x0
	ds_store_b128 v0, v[8:11]
	ds_store_b128 v0, v[28:31] offset:624
	ds_store_b128 v0, v[32:35] offset:1248
	s_and_saveexec_b32 s10, vcc_lo
	s_cbranch_execz .LBB0_29
; %bb.28:
	s_clause 0x1
	scratch_load_b128 v[12:15], off, off offset:412 th:TH_LOAD_LU
	scratch_load_b128 v[8:11], off, off offset:396 th:TH_LOAD_LU
	s_wait_loadcnt 0x1
	v_mul_f64_e32 v[0:1], v[14:15], v[40:41]
	s_wait_loadcnt 0x0
	v_mul_f64_e32 v[2:3], v[10:11], v[36:37]
	v_mul_f64_e32 v[4:5], v[14:15], v[42:43]
	v_mul_f64_e32 v[6:7], v[10:11], v[38:39]
	s_delay_alu instid0(VALU_DEP_4) | instskip(NEXT) | instid1(VALU_DEP_4)
	v_fma_f64 v[0:1], v[12:13], v[42:43], -v[0:1]
	v_fma_f64 v[2:3], v[8:9], v[38:39], -v[2:3]
	s_delay_alu instid0(VALU_DEP_4) | instskip(NEXT) | instid1(VALU_DEP_4)
	v_fma_f64 v[4:5], v[12:13], v[40:41], v[4:5]
	v_fma_f64 v[6:7], v[8:9], v[36:37], v[6:7]
	s_delay_alu instid0(VALU_DEP_4) | instskip(NEXT) | instid1(VALU_DEP_4)
	v_add_f64_e32 v[14:15], v[46:47], v[0:1]
	v_add_f64_e32 v[8:9], v[0:1], v[2:3]
	v_add_f64_e64 v[16:17], v[0:1], -v[2:3]
	s_delay_alu instid0(VALU_DEP_4)
	v_add_f64_e32 v[10:11], v[4:5], v[6:7]
	v_add_f64_e64 v[12:13], v[4:5], -v[6:7]
	v_add_f64_e32 v[4:5], v[44:45], v[4:5]
	v_add_f64_e32 v[2:3], v[14:15], v[2:3]
	v_fma_f64 v[8:9], v[8:9], -0.5, v[46:47]
	v_fma_f64 v[18:19], v[10:11], -0.5, v[44:45]
	s_delay_alu instid0(VALU_DEP_4) | instskip(NEXT) | instid1(VALU_DEP_3)
	v_add_f64_e32 v[0:1], v[4:5], v[6:7]
	v_fma_f64 v[6:7], v[12:13], s[0:1], v[8:9]
	v_fma_f64 v[10:11], v[12:13], s[2:3], v[8:9]
	scratch_load_b32 v12, off, off offset:372 th:TH_LOAD_LU ; 4-byte Folded Reload
	v_fma_f64 v[8:9], v[16:17], s[0:1], v[18:19]
	v_fma_f64 v[4:5], v[16:17], s[2:3], v[18:19]
	s_wait_loadcnt 0x0
	v_and_b32_e32 v12, 0xffff, v12
	s_delay_alu instid0(VALU_DEP_1)
	v_lshlrev_b32_e32 v12, 4, v12
	ds_store_b128 v12, v[0:3]
	ds_store_b128 v12, v[8:11] offset:624
	ds_store_b128 v12, v[4:7] offset:1248
.LBB0_29:
	s_wait_alu 0xfffe
	s_or_b32 exec_lo, exec_lo, s10
	global_wb scope:SCOPE_SE
	s_wait_dscnt 0x0
	s_barrier_signal -1
	s_barrier_wait -1
	global_inv scope:SCOPE_SE
	ds_load_b128 v[0:3], v255 offset:1872
	ds_load_b128 v[4:7], v255 offset:18720
	;; [unrolled: 1-line block ×10, first 2 shown]
	s_mov_b32 s0, 0xf8bb580b
	s_mov_b32 s2, 0x8764f0ba
	;; [unrolled: 1-line block ×14, first 2 shown]
	s_wait_dscnt 0x8
	v_mul_f64_e32 v[44:45], v[118:119], v[4:5]
	s_wait_dscnt 0x7
	v_mul_f64_e32 v[46:47], v[126:127], v[8:9]
	v_mul_f64_e32 v[36:37], v[122:123], v[2:3]
	;; [unrolled: 1-line block ×3, first 2 shown]
	s_wait_dscnt 0x6
	v_mul_f64_e32 v[48:49], v[130:131], v[12:13]
	v_mul_f64_e32 v[50:51], v[126:127], v[10:11]
	s_wait_dscnt 0x5
	v_mul_f64_e32 v[56:57], v[142:143], v[16:17]
	s_wait_dscnt 0x4
	v_mul_f64_e32 v[58:59], v[150:151], v[20:21]
	v_mul_f64_e32 v[62:63], v[142:143], v[18:19]
	;; [unrolled: 1-line block ×4, first 2 shown]
	s_wait_dscnt 0x1
	v_mul_f64_e32 v[72:73], v[146:147], v[34:35]
	v_mul_f64_e32 v[60:61], v[118:119], v[6:7]
	;; [unrolled: 1-line block ×7, first 2 shown]
	s_mov_b32 s25, 0xbfe82f19
	s_mov_b32 s27, 0xbfe4f49e
	;; [unrolled: 1-line block ×8, first 2 shown]
	s_wait_alu 0xfffe
	s_mov_b32 s10, s0
	s_mov_b32 s16, s12
	;; [unrolled: 1-line block ×8, first 2 shown]
	v_fma_f64 v[52:53], v[120:121], v[0:1], v[36:37]
	v_fma_f64 v[54:55], v[120:121], v[2:3], -v[38:39]
	ds_load_b128 v[36:39], v255
	s_wait_dscnt 0x1
	v_mul_f64_e32 v[82:83], v[154:155], v[40:41]
	v_fma_f64 v[0:1], v[116:117], v[6:7], -v[44:45]
	v_fma_f64 v[44:45], v[124:125], v[10:11], -v[46:47]
	;; [unrolled: 1-line block ×3, first 2 shown]
	v_fma_f64 v[14:15], v[124:125], v[8:9], v[50:51]
	v_mul_f64_e32 v[80:81], v[154:155], v[42:43]
	v_fma_f64 v[18:19], v[140:141], v[18:19], -v[56:57]
	v_fma_f64 v[8:9], v[148:149], v[22:23], -v[58:59]
	v_fma_f64 v[16:17], v[140:141], v[16:17], v[62:63]
	v_fma_f64 v[10:11], v[148:149], v[20:21], v[68:69]
	;; [unrolled: 1-line block ×6, first 2 shown]
	v_fma_f64 v[20:21], v[136:137], v[26:27], -v[70:71]
	v_fma_f64 v[24:25], v[144:145], v[34:35], -v[74:75]
	v_fma_f64 v[26:27], v[156:157], v[28:29], v[76:77]
	v_fma_f64 v[28:29], v[156:157], v[30:31], -v[78:79]
	s_wait_dscnt 0x0
	v_add_f64_e32 v[46:47], v[36:37], v[52:53]
	v_add_f64_e32 v[48:49], v[38:39], v[54:55]
	v_fma_f64 v[32:33], v[152:153], v[42:43], -v[82:83]
	v_add_f64_e64 v[34:35], v[54:55], -v[0:1]
	v_add_f64_e64 v[42:43], v[44:45], -v[2:3]
	v_add_f64_e32 v[50:51], v[44:45], v[2:3]
	v_fma_f64 v[30:31], v[152:153], v[40:41], v[80:81]
	v_add_f64_e32 v[40:41], v[54:55], v[0:1]
	v_add_f64_e32 v[54:55], v[18:19], v[8:9]
	v_add_f64_e32 v[60:61], v[16:17], v[10:11]
	v_add_f64_e64 v[62:63], v[16:17], -v[10:11]
	v_add_f64_e32 v[56:57], v[52:53], v[4:5]
	v_add_f64_e64 v[52:53], v[52:53], -v[4:5]
	v_add_f64_e32 v[64:65], v[12:13], v[22:23]
	;; [unrolled: 2-line block ×3, first 2 shown]
	v_add_f64_e32 v[66:67], v[20:21], v[24:25]
	v_add_f64_e64 v[68:69], v[20:21], -v[24:25]
	v_add_f64_e32 v[46:47], v[46:47], v[14:15]
	v_add_f64_e32 v[44:45], v[48:49], v[44:45]
	v_add_f64_e64 v[48:49], v[18:19], -v[8:9]
	v_add_f64_e32 v[74:75], v[28:29], v[32:33]
	v_mul_f64_e32 v[80:81], s[0:1], v[34:35]
	v_mul_f64_e32 v[84:85], s[12:13], v[34:35]
	;; [unrolled: 1-line block ×10, first 2 shown]
	v_add_f64_e64 v[14:15], v[14:15], -v[6:7]
	v_mul_f64_e32 v[96:97], s[12:13], v[42:43]
	v_mul_f64_e32 v[98:99], s[14:15], v[50:51]
	v_mul_f64_e32 v[100:101], s[24:25], v[42:43]
	v_mul_f64_e32 v[102:103], s[34:35], v[50:51]
	s_wait_alu 0xfffe
	v_mul_f64_e32 v[104:105], s[22:23], v[42:43]
	v_mul_f64_e32 v[106:107], s[20:21], v[50:51]
	;; [unrolled: 1-line block ×6, first 2 shown]
	v_add_f64_e32 v[72:73], v[26:27], v[30:31]
	v_add_f64_e64 v[76:77], v[26:27], -v[30:31]
	v_add_f64_e64 v[78:79], v[28:29], -v[32:33]
	v_mul_f64_e32 v[54:55], s[26:27], v[54:55]
	v_mul_f64_e32 v[124:125], s[24:25], v[68:69]
	;; [unrolled: 1-line block ×10, first 2 shown]
	v_add_f64_e32 v[16:17], v[46:47], v[16:17]
	v_add_f64_e32 v[18:19], v[44:45], v[18:19]
	v_mul_f64_e32 v[44:45], s[26:27], v[50:51]
	v_mul_f64_e32 v[142:143], s[34:35], v[74:75]
	;; [unrolled: 1-line block ×5, first 2 shown]
	v_fma_f64 v[156:157], v[56:57], s[14:15], v[84:85]
	v_mul_f64_e32 v[46:47], s[36:37], v[42:43]
	v_fma_f64 v[84:85], v[56:57], s[14:15], -v[84:85]
	v_fma_f64 v[158:159], v[52:53], s[16:17], v[86:87]
	v_fma_f64 v[160:161], v[56:57], s[20:21], v[88:89]
	;; [unrolled: 1-line block ×3, first 2 shown]
	v_fma_f64 v[88:89], v[56:57], s[20:21], -v[88:89]
	v_fma_f64 v[164:165], v[56:57], s[26:27], v[92:93]
	v_fma_f64 v[166:167], v[52:53], s[28:29], v[94:95]
	v_mul_f64_e32 v[42:43], s[10:11], v[42:43]
	v_mul_f64_e32 v[50:51], s[2:3], v[50:51]
	v_fma_f64 v[92:93], v[56:57], s[26:27], -v[92:93]
	v_fma_f64 v[168:169], v[56:57], s[34:35], v[34:35]
	v_fma_f64 v[170:171], v[52:53], s[36:37], v[40:41]
	v_fma_f64 v[34:35], v[56:57], s[34:35], -v[34:35]
	v_fma_f64 v[40:41], v[52:53], s[30:31], v[40:41]
	v_fma_f64 v[94:95], v[52:53], s[24:25], v[94:95]
	;; [unrolled: 1-line block ×4, first 2 shown]
	v_mul_f64_e32 v[108:109], s[18:19], v[48:49]
	v_mul_f64_e32 v[112:113], s[36:37], v[48:49]
	v_fma_f64 v[172:173], v[58:59], s[26:27], v[100:101]
	v_mul_f64_e32 v[116:117], s[16:17], v[48:49]
	v_fma_f64 v[100:101], v[58:59], s[26:27], -v[100:101]
	v_fma_f64 v[178:179], v[14:15], s[30:31], v[102:103]
	v_mul_f64_e32 v[120:121], s[0:1], v[48:49]
	v_fma_f64 v[180:181], v[58:59], s[20:21], v[104:105]
	v_fma_f64 v[182:183], v[14:15], s[18:19], v[106:107]
	v_mul_f64_e32 v[48:49], s[24:25], v[48:49]
	v_fma_f64 v[104:105], v[58:59], s[20:21], -v[104:105]
	v_fma_f64 v[102:103], v[14:15], s[36:37], v[102:103]
	v_add_f64_e32 v[12:13], v[16:17], v[12:13]
	v_add_f64_e32 v[16:17], v[18:19], v[20:21]
	v_mul_f64_e32 v[18:19], s[20:21], v[74:75]
	v_fma_f64 v[20:21], v[56:57], s[2:3], v[80:81]
	v_fma_f64 v[74:75], v[52:53], s[10:11], v[82:83]
	v_fma_f64 v[80:81], v[56:57], s[2:3], -v[80:81]
	v_fma_f64 v[82:83], v[52:53], s[0:1], v[82:83]
	v_fma_f64 v[52:53], v[58:59], s[14:15], v[96:97]
	;; [unrolled: 1-line block ×3, first 2 shown]
	v_fma_f64 v[96:97], v[58:59], s[14:15], -v[96:97]
	v_fma_f64 v[98:99], v[14:15], s[12:13], v[98:99]
	v_fma_f64 v[174:175], v[14:15], s[28:29], v[44:45]
	v_add_f64_e32 v[156:157], v[36:37], v[156:157]
	v_add_f64_e32 v[158:159], v[38:39], v[158:159]
	v_fma_f64 v[176:177], v[58:59], s[34:35], v[46:47]
	v_add_f64_e32 v[84:85], v[36:37], v[84:85]
	v_add_f64_e32 v[160:161], v[36:37], v[160:161]
	;; [unrolled: 1-line block ×3, first 2 shown]
	v_fma_f64 v[46:47], v[58:59], s[34:35], -v[46:47]
	v_add_f64_e32 v[88:89], v[36:37], v[88:89]
	v_add_f64_e32 v[164:165], v[36:37], v[164:165]
	;; [unrolled: 1-line block ×6, first 2 shown]
	v_fma_f64 v[44:45], v[14:15], s[24:25], v[44:45]
	v_add_f64_e32 v[34:35], v[36:37], v[34:35]
	v_add_f64_e32 v[90:91], v[38:39], v[90:91]
	;; [unrolled: 1-line block ×3, first 2 shown]
	v_fma_f64 v[184:185], v[60:61], s[34:35], v[112:113]
	v_fma_f64 v[186:187], v[62:63], s[30:31], v[114:115]
	;; [unrolled: 1-line block ×4, first 2 shown]
	v_mul_f64_e32 v[66:67], s[14:15], v[66:67]
	v_fma_f64 v[116:117], v[60:61], s[14:15], -v[116:117]
	v_fma_f64 v[118:119], v[62:63], s[16:17], v[118:119]
	v_fma_f64 v[112:113], v[60:61], s[34:35], -v[112:113]
	v_fma_f64 v[114:115], v[62:63], s[36:37], v[114:115]
	v_add_f64_e32 v[12:13], v[12:13], v[26:27]
	v_add_f64_e32 v[16:17], v[16:17], v[28:29]
	v_fma_f64 v[26:27], v[14:15], s[22:23], v[106:107]
	v_add_f64_e32 v[20:21], v[36:37], v[20:21]
	v_fma_f64 v[28:29], v[58:59], s[2:3], v[42:43]
	v_add_f64_e32 v[80:81], v[36:37], v[80:81]
	v_add_f64_e32 v[82:83], v[38:39], v[82:83]
	v_fma_f64 v[106:107], v[14:15], s[0:1], v[50:51]
	v_fma_f64 v[42:43], v[58:59], s[2:3], -v[42:43]
	v_fma_f64 v[14:15], v[14:15], s[10:11], v[50:51]
	v_add_f64_e32 v[36:37], v[38:39], v[40:41]
	v_add_f64_e32 v[40:41], v[38:39], v[94:95]
	v_fma_f64 v[50:51], v[60:61], s[20:21], v[108:109]
	v_fma_f64 v[58:59], v[62:63], s[22:23], v[110:111]
	v_fma_f64 v[108:109], v[60:61], s[20:21], -v[108:109]
	v_fma_f64 v[110:111], v[62:63], s[18:19], v[110:111]
	v_add_f64_e32 v[84:85], v[100:101], v[84:85]
	v_add_f64_e32 v[100:101], v[178:179], v[162:163]
	v_fma_f64 v[94:95], v[62:63], s[0:1], v[122:123]
	v_add_f64_e32 v[46:47], v[46:47], v[88:89]
	v_add_f64_e32 v[88:89], v[180:181], v[164:165]
	v_mul_f64_e32 v[144:145], s[10:11], v[78:79]
	v_add_f64_e32 v[92:93], v[104:105], v[92:93]
	v_fma_f64 v[192:193], v[64:65], s[20:21], v[128:129]
	v_fma_f64 v[194:195], v[70:71], s[18:19], v[130:131]
	v_mul_f64_e32 v[140:141], s[30:31], v[78:79]
	v_mul_f64_e32 v[148:149], s[24:25], v[78:79]
	;; [unrolled: 1-line block ×4, first 2 shown]
	v_fma_f64 v[128:129], v[64:65], s[20:21], -v[128:129]
	v_fma_f64 v[130:131], v[70:71], s[22:23], v[130:131]
	v_add_f64_e32 v[12:13], v[12:13], v[30:31]
	v_add_f64_e32 v[16:17], v[16:17], v[32:33]
	;; [unrolled: 1-line block ×4, first 2 shown]
	v_fma_f64 v[32:33], v[60:61], s[2:3], v[120:121]
	v_add_f64_e32 v[52:53], v[96:97], v[80:81]
	v_add_f64_e32 v[80:81], v[98:99], v[82:83]
	;; [unrolled: 1-line block ×5, first 2 shown]
	v_fma_f64 v[38:39], v[62:63], s[10:11], v[122:123]
	v_add_f64_e32 v[156:157], v[182:183], v[166:167]
	v_fma_f64 v[74:75], v[60:61], s[2:3], -v[120:121]
	v_fma_f64 v[120:121], v[60:61], s[26:27], v[48:49]
	v_fma_f64 v[122:123], v[62:63], s[28:29], v[54:55]
	v_add_f64_e32 v[28:29], v[28:29], v[168:169]
	v_add_f64_e32 v[104:105], v[106:107], v[170:171]
	v_fma_f64 v[48:49], v[60:61], s[26:27], -v[48:49]
	v_fma_f64 v[54:55], v[62:63], s[24:25], v[54:55]
	v_add_f64_e32 v[34:35], v[42:43], v[34:35]
	v_add_f64_e32 v[14:15], v[14:15], v[36:37]
	;; [unrolled: 1-line block ×5, first 2 shown]
	v_fma_f64 v[60:61], v[64:65], s[26:27], v[124:125]
	v_fma_f64 v[62:63], v[70:71], s[28:29], v[126:127]
	v_fma_f64 v[124:125], v[64:65], s[26:27], -v[124:125]
	v_fma_f64 v[126:127], v[70:71], s[24:25], v[126:127]
	v_fma_f64 v[86:87], v[70:71], s[36:37], v[138:139]
	v_fma_f64 v[42:43], v[64:65], s[2:3], -v[132:133]
	v_fma_f64 v[90:91], v[64:65], s[34:35], -v[136:137]
	v_fma_f64 v[106:107], v[64:65], s[14:15], v[68:69]
	v_add_f64_e32 v[46:47], v[116:117], v[46:47]
	v_fma_f64 v[102:103], v[70:71], s[30:31], v[138:139]
	v_fma_f64 v[44:45], v[70:71], s[0:1], v[134:135]
	v_add_f64_e32 v[84:85], v[112:113], v[84:85]
	v_fma_f64 v[112:113], v[76:77], s[16:17], v[154:155]
	v_fma_f64 v[116:117], v[76:77], s[22:23], v[18:19]
	v_add_f64_e32 v[12:13], v[12:13], v[22:23]
	v_add_f64_e32 v[16:17], v[16:17], v[24:25]
	;; [unrolled: 1-line block ×4, first 2 shown]
	v_fma_f64 v[24:25], v[64:65], s[2:3], v[132:133]
	v_add_f64_e32 v[50:51], v[108:109], v[52:53]
	v_add_f64_e32 v[52:53], v[110:111], v[80:81]
	;; [unrolled: 1-line block ×4, first 2 shown]
	v_fma_f64 v[30:31], v[70:71], s[10:11], v[134:135]
	v_add_f64_e32 v[96:97], v[188:189], v[98:99]
	v_add_f64_e32 v[98:99], v[190:191], v[100:101]
	v_fma_f64 v[56:57], v[64:65], s[34:35], v[136:137]
	v_add_f64_e32 v[32:33], v[32:33], v[88:89]
	v_add_f64_e32 v[38:39], v[38:39], v[156:157]
	;; [unrolled: 3-line block ×3, first 2 shown]
	v_add_f64_e32 v[88:89], v[122:123], v[104:105]
	v_fma_f64 v[64:65], v[64:65], s[14:15], -v[68:69]
	v_fma_f64 v[66:67], v[70:71], s[16:17], v[66:67]
	v_add_f64_e32 v[34:35], v[48:49], v[34:35]
	v_add_f64_e32 v[14:15], v[54:55], v[14:15]
	;; [unrolled: 1-line block ×5, first 2 shown]
	v_fma_f64 v[70:71], v[76:77], s[36:37], v[142:143]
	v_fma_f64 v[136:137], v[76:77], s[30:31], v[142:143]
	;; [unrolled: 1-line block ×7, first 2 shown]
	v_fma_f64 v[134:135], v[72:73], s[34:35], -v[140:141]
	v_fma_f64 v[104:105], v[72:73], s[14:15], v[152:153]
	v_fma_f64 v[114:115], v[72:73], s[20:21], v[78:79]
	v_add_f64_e32 v[42:43], v[42:43], v[46:47]
	v_fma_f64 v[48:49], v[72:73], s[2:3], -v[144:145]
	v_add_f64_e32 v[10:11], v[12:13], v[10:11]
	v_add_f64_e32 v[8:9], v[16:17], v[8:9]
	;; [unrolled: 1-line block ×3, first 2 shown]
	v_fma_f64 v[16:17], v[72:73], s[2:3], v[144:145]
	v_fma_f64 v[22:23], v[76:77], s[0:1], v[146:147]
	;; [unrolled: 1-line block ×3, first 2 shown]
	v_add_f64_e32 v[18:19], v[60:61], v[20:21]
	v_add_f64_e32 v[20:21], v[124:125], v[50:51]
	;; [unrolled: 1-line block ×5, first 2 shown]
	v_fma_f64 v[58:59], v[72:73], s[26:27], v[148:149]
	v_add_f64_e32 v[24:25], v[24:25], v[96:97]
	v_add_f64_e32 v[30:31], v[30:31], v[98:99]
	;; [unrolled: 1-line block ×7, first 2 shown]
	v_fma_f64 v[94:95], v[72:73], s[26:27], -v[148:149]
	v_fma_f64 v[110:111], v[72:73], s[14:15], -v[152:153]
	;; [unrolled: 1-line block ×3, first 2 shown]
	v_add_f64_e32 v[64:65], v[64:65], v[34:35]
	v_add_f64_e32 v[66:67], v[66:67], v[14:15]
	;; [unrolled: 1-line block ×6, first 2 shown]
	s_mov_b32 s2, 0x768d3a48
	s_mov_b32 s3, 0x3f4975f4
	s_movk_i32 s10, 0xfd1b
	s_mov_b32 s11, -1
	v_add_f64_e32 v[84:85], v[10:11], v[6:7]
	v_add_f64_e32 v[86:87], v[8:9], v[2:3]
	;; [unrolled: 1-line block ×25, first 2 shown]
	ds_store_b128 v255, v[10:13] offset:3744
	ds_store_b128 v255, v[18:21] offset:5616
	;; [unrolled: 1-line block ×9, first 2 shown]
	ds_store_b128 v255, v[42:45]
	ds_store_b128 v255, v[2:5] offset:1872
	global_wb scope:SCOPE_SE
	s_wait_dscnt 0x0
	s_barrier_signal -1
	s_barrier_wait -1
	global_inv scope:SCOPE_SE
	ds_load_b128 v[0:3], v255
	ds_load_b128 v[4:7], v255 offset:6864
	ds_load_b128 v[8:11], v255 offset:13728
	;; [unrolled: 1-line block ×8, first 2 shown]
	s_clause 0x4
	scratch_load_b128 v[79:82], off, off offset:20 th:TH_LOAD_LU
	scratch_load_b128 v[87:90], off, off offset:68 th:TH_LOAD_LU
	;; [unrolled: 1-line block ×3, first 2 shown]
	scratch_load_b64 v[36:37], off, off offset:8 th:TH_LOAD_LU
	scratch_load_b32 v78, off, off offset:16 th:TH_LOAD_LU
	s_wait_loadcnt_dscnt 0x408
	v_mul_f64_e32 v[40:41], v[81:82], v[2:3]
	v_mul_f64_e32 v[42:43], v[81:82], v[0:1]
	scratch_load_b128 v[81:84], off, off offset:36 th:TH_LOAD_LU ; 16-byte Folded Reload
	s_wait_loadcnt_dscnt 0x406
	v_mul_f64_e32 v[48:49], v[89:90], v[10:11]
	v_mul_f64_e32 v[50:51], v[89:90], v[8:9]
	scratch_load_b128 v[89:92], off, off offset:84 th:TH_LOAD_LU ; 16-byte Folded Reload
	s_wait_loadcnt 0x3
	v_mov_b32_e32 v76, v36
	s_wait_loadcnt 0x2
	v_mad_co_u64_u32 v[38:39], null, s4, v78, 0
	s_delay_alu instid0(VALU_DEP_2) | instskip(NEXT) | instid1(VALU_DEP_1)
	v_mad_co_u64_u32 v[36:37], null, s6, v76, 0
	v_mad_co_u64_u32 v[76:77], null, s7, v76, v[37:38]
	s_mul_u64 s[6:7], s[4:5], 0x1ad
	s_wait_alu 0xfffe
	s_lshl_b64 s[6:7], s[6:7], 4
	s_delay_alu instid0(VALU_DEP_1) | instskip(NEXT) | instid1(VALU_DEP_1)
	v_mov_b32_e32 v37, v76
	v_lshlrev_b64_e32 v[36:37], 4, v[36:37]
	v_mad_co_u64_u32 v[77:78], null, s5, v78, v[39:40]
	v_fma_f64 v[0:1], v[79:80], v[0:1], v[40:41]
	v_fma_f64 v[40:41], v[79:80], v[2:3], -v[42:43]
	s_mul_u64 s[4:5], s[4:5], s[10:11]
	s_wait_alu 0xfffe
	s_lshl_b64 s[4:5], s[4:5], 4
	s_delay_alu instid0(VALU_DEP_3) | instskip(NEXT) | instid1(VALU_DEP_1)
	v_mov_b32_e32 v39, v77
	v_lshlrev_b64_e32 v[2:3], 4, v[38:39]
	s_wait_loadcnt_dscnt 0x105
	v_mul_f64_e32 v[52:53], v[83:84], v[14:15]
	v_mul_f64_e32 v[54:55], v[83:84], v[12:13]
	scratch_load_b128 v[83:86], off, off offset:52 th:TH_LOAD_LU ; 16-byte Folded Reload
	v_mul_f64_e32 v[44:45], v[95:96], v[6:7]
	v_mul_f64_e32 v[46:47], v[95:96], v[4:5]
	scratch_load_b128 v[95:98], off, off offset:116 th:TH_LOAD_LU ; 16-byte Folded Reload
	s_wait_loadcnt_dscnt 0x203
	v_mul_f64_e32 v[60:61], v[91:92], v[22:23]
	v_mul_f64_e32 v[62:63], v[91:92], v[20:21]
	v_fma_f64 v[42:43], v[93:94], v[4:5], v[44:45]
	v_fma_f64 v[44:45], v[93:94], v[6:7], -v[46:47]
	v_fma_f64 v[46:47], v[87:88], v[8:9], v[48:49]
	v_fma_f64 v[48:49], v[87:88], v[10:11], -v[50:51]
	;; [unrolled: 2-line block ×3, first 2 shown]
	v_add_co_u32 v4, s0, s8, v36
	s_wait_alu 0xf1ff
	v_add_co_ci_u32_e64 v5, s0, s9, v37, s0
	s_delay_alu instid0(VALU_DEP_2) | instskip(SKIP_1) | instid1(VALU_DEP_2)
	v_add_co_u32 v38, s0, v4, v2
	s_wait_alu 0xf1ff
	v_add_co_ci_u32_e64 v39, s0, v5, v3, s0
	v_mul_f64_e32 v[2:3], s[2:3], v[0:1]
	v_mul_f64_e32 v[4:5], s[2:3], v[40:41]
	;; [unrolled: 1-line block ×7, first 2 shown]
	s_wait_loadcnt 0x1
	v_mul_f64_e32 v[56:57], v[85:86], v[18:19]
	v_mul_f64_e32 v[58:59], v[85:86], v[16:17]
	s_wait_loadcnt_dscnt 0x2
	v_mul_f64_e32 v[64:65], v[97:98], v[26:27]
	v_mul_f64_e32 v[66:67], v[97:98], v[24:25]
	scratch_load_b128 v[97:100], off, off offset:132 th:TH_LOAD_LU ; 16-byte Folded Reload
	v_fma_f64 v[54:55], v[83:84], v[16:17], v[56:57]
	v_fma_f64 v[56:57], v[83:84], v[18:19], -v[58:59]
	v_fma_f64 v[58:59], v[89:90], v[20:21], v[60:61]
	v_fma_f64 v[60:61], v[89:90], v[22:23], -v[62:63]
	;; [unrolled: 2-line block ×3, first 2 shown]
	v_mul_f64_e32 v[16:17], s[2:3], v[52:53]
	v_mul_f64_e32 v[18:19], s[2:3], v[54:55]
	;; [unrolled: 1-line block ×6, first 2 shown]
	s_wait_loadcnt_dscnt 0x1
	v_mul_f64_e32 v[68:69], v[99:100], v[30:31]
	v_mul_f64_e32 v[70:71], v[99:100], v[28:29]
	scratch_load_b128 v[99:102], off, off offset:148 th:TH_LOAD_LU ; 16-byte Folded Reload
	v_fma_f64 v[66:67], v[97:98], v[28:29], v[68:69]
	v_fma_f64 v[68:69], v[97:98], v[30:31], -v[70:71]
	v_mul_f64_e32 v[28:29], s[2:3], v[64:65]
	s_delay_alu instid0(VALU_DEP_3) | instskip(SKIP_3) | instid1(VALU_DEP_2)
	v_mul_f64_e32 v[30:31], s[2:3], v[66:67]
	s_wait_loadcnt_dscnt 0x0
	v_mul_f64_e32 v[72:73], v[101:102], v[34:35]
	v_mul_f64_e32 v[74:75], v[101:102], v[32:33]
	v_fma_f64 v[70:71], v[99:100], v[32:33], v[72:73]
	s_delay_alu instid0(VALU_DEP_2) | instskip(SKIP_4) | instid1(VALU_DEP_3)
	v_fma_f64 v[72:73], v[99:100], v[34:35], -v[74:75]
	v_add_co_u32 v74, s0, v38, s6
	s_wait_alu 0xf1ff
	v_add_co_ci_u32_e64 v75, s0, s7, v39, s0
	v_mul_f64_e32 v[32:33], s[2:3], v[68:69]
	v_add_co_u32 v76, s0, v74, s6
	s_wait_alu 0xf1ff
	s_delay_alu instid0(VALU_DEP_3) | instskip(SKIP_1) | instid1(VALU_DEP_2)
	v_add_co_ci_u32_e64 v77, s0, s7, v75, s0
	s_wait_alu 0xfffe
	v_add_co_u32 v40, s0, v76, s4
	s_wait_alu 0xf1ff
	s_delay_alu instid0(VALU_DEP_2) | instskip(NEXT) | instid1(VALU_DEP_2)
	v_add_co_ci_u32_e64 v41, s0, s5, v77, s0
	v_add_co_u32 v42, s0, v40, s6
	s_wait_alu 0xf1ff
	s_delay_alu instid0(VALU_DEP_2) | instskip(NEXT) | instid1(VALU_DEP_2)
	v_add_co_ci_u32_e64 v43, s0, s7, v41, s0
	;; [unrolled: 4-line block ×5, first 2 shown]
	v_add_co_u32 v0, s0, v48, s6
	v_mul_f64_e32 v[34:35], s[2:3], v[70:71]
	v_mul_f64_e32 v[36:37], s[2:3], v[72:73]
	s_wait_alu 0xf1ff
	v_add_co_ci_u32_e64 v1, s0, s7, v49, s0
	s_clause 0x4
	global_store_b128 v[38:39], v[2:5], off
	global_store_b128 v[74:75], v[6:9], off
	global_store_b128 v[76:77], v[10:13], off
	global_store_b128 v[40:41], v[14:17], off
	global_store_b128 v[42:43], v[18:21], off
	global_store_b128 v[44:45], v[22:25], off
	global_store_b128 v[46:47], v[26:29], off
	global_store_b128 v[48:49], v[30:33], off
	global_store_b128 v[0:1], v[34:37], off
	s_and_b32 exec_lo, exec_lo, vcc_lo
	s_cbranch_execz .LBB0_31
; %bb.30:
	scratch_load_b64 v[10:11], off, off th:TH_LOAD_LU ; 8-byte Folded Reload
	v_add_co_u32 v0, vcc_lo, v0, s4
	s_wait_alu 0xfffd
	v_add_co_ci_u32_e32 v1, vcc_lo, s5, v1, vcc_lo
	s_wait_loadcnt 0x0
	s_clause 0x2
	global_load_b128 v[2:5], v[10:11], off offset:5616
	global_load_b128 v[6:9], v[10:11], off offset:12480
	;; [unrolled: 1-line block ×3, first 2 shown]
	ds_load_b128 v[14:17], v255 offset:5616
	ds_load_b128 v[18:21], v255 offset:12480
	;; [unrolled: 1-line block ×3, first 2 shown]
	s_wait_loadcnt_dscnt 0x202
	v_mul_f64_e32 v[26:27], v[16:17], v[4:5]
	v_mul_f64_e32 v[4:5], v[14:15], v[4:5]
	s_wait_loadcnt_dscnt 0x101
	v_mul_f64_e32 v[28:29], v[20:21], v[8:9]
	v_mul_f64_e32 v[8:9], v[18:19], v[8:9]
	;; [unrolled: 3-line block ×3, first 2 shown]
	v_fma_f64 v[14:15], v[14:15], v[2:3], v[26:27]
	v_fma_f64 v[4:5], v[2:3], v[16:17], -v[4:5]
	v_fma_f64 v[16:17], v[18:19], v[6:7], v[28:29]
	v_fma_f64 v[8:9], v[6:7], v[20:21], -v[8:9]
	;; [unrolled: 2-line block ×3, first 2 shown]
	v_mul_f64_e32 v[2:3], s[2:3], v[14:15]
	v_mul_f64_e32 v[4:5], s[2:3], v[4:5]
	;; [unrolled: 1-line block ×6, first 2 shown]
	v_add_co_u32 v14, vcc_lo, v0, s6
	s_wait_alu 0xfffd
	v_add_co_ci_u32_e32 v15, vcc_lo, s7, v1, vcc_lo
	s_delay_alu instid0(VALU_DEP_2) | instskip(SKIP_1) | instid1(VALU_DEP_2)
	v_add_co_u32 v16, vcc_lo, v14, s6
	s_wait_alu 0xfffd
	v_add_co_ci_u32_e32 v17, vcc_lo, s7, v15, vcc_lo
	global_store_b128 v[0:1], v[2:5], off
	global_store_b128 v[14:15], v[6:9], off
	;; [unrolled: 1-line block ×3, first 2 shown]
.LBB0_31:
	s_nop 0
	s_sendmsg sendmsg(MSG_DEALLOC_VGPRS)
	s_endpgm
	.section	.rodata,"a",@progbits
	.p2align	6, 0x0
	.amdhsa_kernel bluestein_single_back_len1287_dim1_dp_op_CI_CI
		.amdhsa_group_segment_fixed_size 20592
		.amdhsa_private_segment_fixed_size 464
		.amdhsa_kernarg_size 104
		.amdhsa_user_sgpr_count 2
		.amdhsa_user_sgpr_dispatch_ptr 0
		.amdhsa_user_sgpr_queue_ptr 0
		.amdhsa_user_sgpr_kernarg_segment_ptr 1
		.amdhsa_user_sgpr_dispatch_id 0
		.amdhsa_user_sgpr_private_segment_size 0
		.amdhsa_wavefront_size32 1
		.amdhsa_uses_dynamic_stack 0
		.amdhsa_enable_private_segment 1
		.amdhsa_system_sgpr_workgroup_id_x 1
		.amdhsa_system_sgpr_workgroup_id_y 0
		.amdhsa_system_sgpr_workgroup_id_z 0
		.amdhsa_system_sgpr_workgroup_info 0
		.amdhsa_system_vgpr_workitem_id 0
		.amdhsa_next_free_vgpr 256
		.amdhsa_next_free_sgpr 50
		.amdhsa_reserve_vcc 1
		.amdhsa_float_round_mode_32 0
		.amdhsa_float_round_mode_16_64 0
		.amdhsa_float_denorm_mode_32 3
		.amdhsa_float_denorm_mode_16_64 3
		.amdhsa_fp16_overflow 0
		.amdhsa_workgroup_processor_mode 1
		.amdhsa_memory_ordered 1
		.amdhsa_forward_progress 0
		.amdhsa_round_robin_scheduling 0
		.amdhsa_exception_fp_ieee_invalid_op 0
		.amdhsa_exception_fp_denorm_src 0
		.amdhsa_exception_fp_ieee_div_zero 0
		.amdhsa_exception_fp_ieee_overflow 0
		.amdhsa_exception_fp_ieee_underflow 0
		.amdhsa_exception_fp_ieee_inexact 0
		.amdhsa_exception_int_div_zero 0
	.end_amdhsa_kernel
	.text
.Lfunc_end0:
	.size	bluestein_single_back_len1287_dim1_dp_op_CI_CI, .Lfunc_end0-bluestein_single_back_len1287_dim1_dp_op_CI_CI
                                        ; -- End function
	.section	.AMDGPU.csdata,"",@progbits
; Kernel info:
; codeLenInByte = 21568
; NumSgprs: 52
; NumVgprs: 256
; ScratchSize: 464
; MemoryBound: 0
; FloatMode: 240
; IeeeMode: 1
; LDSByteSize: 20592 bytes/workgroup (compile time only)
; SGPRBlocks: 6
; VGPRBlocks: 31
; NumSGPRsForWavesPerEU: 52
; NumVGPRsForWavesPerEU: 256
; Occupancy: 5
; WaveLimiterHint : 1
; COMPUTE_PGM_RSRC2:SCRATCH_EN: 1
; COMPUTE_PGM_RSRC2:USER_SGPR: 2
; COMPUTE_PGM_RSRC2:TRAP_HANDLER: 0
; COMPUTE_PGM_RSRC2:TGID_X_EN: 1
; COMPUTE_PGM_RSRC2:TGID_Y_EN: 0
; COMPUTE_PGM_RSRC2:TGID_Z_EN: 0
; COMPUTE_PGM_RSRC2:TIDIG_COMP_CNT: 0
	.text
	.p2alignl 7, 3214868480
	.fill 96, 4, 3214868480
	.type	__hip_cuid_37f2b85640dc57fa,@object ; @__hip_cuid_37f2b85640dc57fa
	.section	.bss,"aw",@nobits
	.globl	__hip_cuid_37f2b85640dc57fa
__hip_cuid_37f2b85640dc57fa:
	.byte	0                               ; 0x0
	.size	__hip_cuid_37f2b85640dc57fa, 1

	.ident	"AMD clang version 19.0.0git (https://github.com/RadeonOpenCompute/llvm-project roc-6.4.0 25133 c7fe45cf4b819c5991fe208aaa96edf142730f1d)"
	.section	".note.GNU-stack","",@progbits
	.addrsig
	.addrsig_sym __hip_cuid_37f2b85640dc57fa
	.amdgpu_metadata
---
amdhsa.kernels:
  - .args:
      - .actual_access:  read_only
        .address_space:  global
        .offset:         0
        .size:           8
        .value_kind:     global_buffer
      - .actual_access:  read_only
        .address_space:  global
        .offset:         8
        .size:           8
        .value_kind:     global_buffer
      - .actual_access:  read_only
        .address_space:  global
        .offset:         16
        .size:           8
        .value_kind:     global_buffer
      - .actual_access:  read_only
        .address_space:  global
        .offset:         24
        .size:           8
        .value_kind:     global_buffer
      - .actual_access:  read_only
        .address_space:  global
        .offset:         32
        .size:           8
        .value_kind:     global_buffer
      - .offset:         40
        .size:           8
        .value_kind:     by_value
      - .address_space:  global
        .offset:         48
        .size:           8
        .value_kind:     global_buffer
      - .address_space:  global
        .offset:         56
        .size:           8
        .value_kind:     global_buffer
      - .address_space:  global
        .offset:         64
        .size:           8
        .value_kind:     global_buffer
      - .address_space:  global
        .offset:         72
        .size:           8
        .value_kind:     global_buffer
      - .offset:         80
        .size:           4
        .value_kind:     by_value
      - .address_space:  global
        .offset:         88
        .size:           8
        .value_kind:     global_buffer
      - .address_space:  global
        .offset:         96
        .size:           8
        .value_kind:     global_buffer
    .group_segment_fixed_size: 20592
    .kernarg_segment_align: 8
    .kernarg_segment_size: 104
    .language:       OpenCL C
    .language_version:
      - 2
      - 0
    .max_flat_workgroup_size: 117
    .name:           bluestein_single_back_len1287_dim1_dp_op_CI_CI
    .private_segment_fixed_size: 464
    .sgpr_count:     52
    .sgpr_spill_count: 0
    .symbol:         bluestein_single_back_len1287_dim1_dp_op_CI_CI.kd
    .uniform_work_group_size: 1
    .uses_dynamic_stack: false
    .vgpr_count:     256
    .vgpr_spill_count: 141
    .wavefront_size: 32
    .workgroup_processor_mode: 1
amdhsa.target:   amdgcn-amd-amdhsa--gfx1201
amdhsa.version:
  - 1
  - 2
...

	.end_amdgpu_metadata
